;; amdgpu-corpus repo=ROCm/rocSOLVER kind=compiled arch=gfx950 opt=O3
	.amdgcn_target "amdgcn-amd-amdhsa--gfx950"
	.amdhsa_code_object_version 6
	.section	.text._ZN9rocsolver6v33100L18larfg_kernel_smallILi64E19rocblas_complex_numIfEifPS3_EEvT1_T3_llPT2_llS6_lS5_lPT0_l,"axG",@progbits,_ZN9rocsolver6v33100L18larfg_kernel_smallILi64E19rocblas_complex_numIfEifPS3_EEvT1_T3_llPT2_llS6_lS5_lPT0_l,comdat
	.globl	_ZN9rocsolver6v33100L18larfg_kernel_smallILi64E19rocblas_complex_numIfEifPS3_EEvT1_T3_llPT2_llS6_lS5_lPT0_l ; -- Begin function _ZN9rocsolver6v33100L18larfg_kernel_smallILi64E19rocblas_complex_numIfEifPS3_EEvT1_T3_llPT2_llS6_lS5_lPT0_l
	.p2align	8
	.type	_ZN9rocsolver6v33100L18larfg_kernel_smallILi64E19rocblas_complex_numIfEifPS3_EEvT1_T3_llPT2_llS6_lS5_lPT0_l,@function
_ZN9rocsolver6v33100L18larfg_kernel_smallILi64E19rocblas_complex_numIfEifPS3_EEvT1_T3_llPT2_llS6_lS5_lPT0_l: ; @_ZN9rocsolver6v33100L18larfg_kernel_smallILi64E19rocblas_complex_numIfEifPS3_EEvT1_T3_llPT2_llS6_lS5_lPT0_l
; %bb.0:
	s_load_dwordx16 s[4:19], s[0:1], 0x8
	s_ashr_i32 s2, s3, 31
	s_mov_b64 s[20:21], 0
	s_waitcnt lgkmcnt(0)
	s_cmp_eq_u64 s[10:11], 0
	s_cbranch_scc1 .LBB0_2
; %bb.1:
	s_mul_i32 s20, s14, s2
	s_mul_hi_u32 s21, s14, s3
	s_add_i32 s20, s21, s20
	s_mul_i32 s15, s15, s3
	s_add_i32 s15, s20, s15
	s_mul_i32 s14, s14, s3
	s_lshl_b64 s[14:15], s[14:15], 2
	s_add_u32 s14, s10, s14
	s_addc_u32 s15, s11, s15
	s_lshl_b64 s[10:11], s[12:13], 2
	s_add_u32 s20, s14, s10
	s_addc_u32 s21, s15, s11
.LBB0_2:
	s_load_dwordx4 s[12:15], s[0:1], 0x50
	s_load_dword s25, s[0:1], 0x0
	s_load_dword s24, s[0:1], 0x48
	s_load_dwordx2 s[22:23], s[0:1], 0x60
	v_mov_b32_e32 v5, 0
	s_waitcnt lgkmcnt(0)
	s_mul_i32 s0, s12, s2
	s_mul_hi_u32 s1, s12, s3
	s_add_i32 s0, s1, s0
	s_mul_i32 s1, s13, s3
	s_add_i32 s1, s0, s1
	s_mul_i32 s0, s12, s3
	s_lshl_b64 s[0:1], s[0:1], 3
	s_add_u32 s10, s16, s0
	s_addc_u32 s11, s17, s1
	s_lshl_b64 s[0:1], s[18:19], 3
	s_add_u32 s10, s10, s0
	s_addc_u32 s11, s11, s1
	s_add_i32 s18, s25, -1
	v_cmp_gt_i32_e64 s[0:1], s18, v0
	v_mul_lo_u32 v2, v0, s24
	v_mov_b32_e32 v4, v5
	s_and_saveexec_b64 s[12:13], s[0:1]
	s_cbranch_execz .LBB0_6
; %bb.3:
	v_mov_b32_e32 v4, 0
	v_mul_lo_u32 v6, v0, s24
	s_lshl_b32 s19, s24, 6
	s_mov_b64 s[16:17], 0
	v_mov_b32_e32 v1, v0
	v_mov_b32_e32 v5, v4
.LBB0_4:                                ; =>This Inner Loop Header: Depth=1
	v_ashrrev_i32_e32 v7, 31, v6
	v_lshl_add_u64 v[8:9], v[6:7], 3, s[10:11]
	global_load_dwordx2 v[8:9], v[8:9], off
	v_add_u32_e32 v1, 64, v1
	v_cmp_le_i32_e32 vcc, s18, v1
	s_or_b64 s[16:17], vcc, s[16:17]
	v_add_u32_e32 v6, s19, v6
	s_waitcnt vmcnt(0)
	v_pk_mul_f32 v[10:11], v[8:9], v[8:9] op_sel:[1,1] op_sel_hi:[0,1]
	v_pk_fma_f32 v[12:13], v[8:9], v[8:9], v[10:11]
	v_pk_fma_f32 v[8:9], v[8:9], v[8:9], v[10:11] op_sel_hi:[0,1,1] neg_lo:[0,0,1] neg_hi:[0,0,1]
	v_mov_b32_e32 v13, v9
	v_pk_add_f32 v[4:5], v[4:5], v[12:13]
	s_andn2_b64 exec, exec, s[16:17]
	s_cbranch_execnz .LBB0_4
; %bb.5:
	s_or_b64 exec, exec, s[16:17]
.LBB0_6:
	s_or_b64 exec, exec, s[12:13]
	v_mbcnt_lo_u32_b32 v1, -1, 0
	v_mbcnt_hi_u32_b32 v1, -1, v1
	v_and_b32_e32 v3, 63, v1
	v_cmp_ne_u32_e32 vcc, 63, v3
	s_nop 1
	v_addc_co_u32_e32 v6, vcc, 0, v1, vcc
	v_lshlrev_b32_e32 v7, 2, v6
	ds_bpermute_b32 v6, v7, v4
	ds_bpermute_b32 v7, v7, v5
	v_cmp_gt_u32_e32 vcc, 62, v3
	s_waitcnt lgkmcnt(0)
	v_pk_add_f32 v[4:5], v[4:5], v[6:7]
	v_cndmask_b32_e64 v8, 0, 2, vcc
	v_add_lshl_u32 v8, v8, v1, 2
	ds_bpermute_b32 v6, v8, v4
	ds_bpermute_b32 v7, v8, v5
	v_cmp_gt_u32_e32 vcc, 60, v3
	s_waitcnt lgkmcnt(0)
	v_pk_add_f32 v[4:5], v[4:5], v[6:7]
	v_cndmask_b32_e64 v8, 0, 4, vcc
	v_add_lshl_u32 v8, v8, v1, 2
	;; [unrolled: 7-line block ×4, first 2 shown]
	ds_bpermute_b32 v6, v3, v4
	ds_bpermute_b32 v7, v3, v5
	v_mov_b32_e32 v3, 0x80
	v_lshl_or_b32 v1, v1, 2, v3
	v_cmp_eq_u32_e32 vcc, 0, v0
	s_waitcnt lgkmcnt(0)
	v_pk_add_f32 v[4:5], v[4:5], v[6:7]
	ds_bpermute_b32 v6, v1, v4
	ds_bpermute_b32 v7, v1, v5
	s_waitcnt lgkmcnt(0)
	v_pk_add_f32 v[4:5], v[4:5], v[6:7]
	s_and_saveexec_b64 s[12:13], vcc
; %bb.7:
	v_lshrrev_b32_e32 v1, 3, v0
	ds_write2_b32 v1, v4, v5 offset1:1
; %bb.8:
	s_or_b64 exec, exec, s[12:13]
	v_cmp_eq_u32_e32 vcc, 0, v0
	s_waitcnt lgkmcnt(0)
	; wave barrier
	s_and_saveexec_b64 s[12:13], vcc
; %bb.9:
	v_mov_b32_e32 v1, 0
	ds_write_b64 v1, v[4:5]
; %bb.10:
	s_or_b64 exec, exec, s[12:13]
	s_waitcnt lgkmcnt(0)
	; wave barrier
	s_and_saveexec_b64 s[12:13], vcc
	s_cbranch_execz .LBB0_21
; %bb.11:
	s_mul_i32 s16, s8, s2
	s_mul_hi_u32 s17, s8, s3
	s_add_i32 s16, s17, s16
	s_mul_i32 s9, s9, s3
	s_add_i32 s9, s16, s9
	s_mul_i32 s8, s8, s3
	s_lshl_b64 s[8:9], s[8:9], 3
	s_add_u32 s8, s4, s8
	s_addc_u32 s9, s5, s9
	s_lshl_b64 s[4:5], s[6:7], 3
	s_add_u32 s16, s8, s4
	s_addc_u32 s17, s9, s5
	v_mov_b32_e32 v5, 0
	s_load_dword s19, s[16:17], 0x4
	ds_read_b32 v6, v5
	s_mul_i32 s2, s22, s2
	s_mul_hi_u32 s4, s22, s3
	s_add_i32 s2, s4, s2
	s_mul_i32 s4, s23, s3
	s_add_i32 s5, s2, s4
	s_mul_i32 s4, s22, s3
	s_lshl_b64 s[2:3], s[4:5], 3
	s_add_u32 s14, s14, s2
	s_waitcnt lgkmcnt(0)
	v_mul_f32_e64 v1, s19, s19
	v_max_f32_e32 v3, v6, v6
	s_addc_u32 s15, s15, s3
	v_max_f32_e32 v3, v3, v1
	s_cmp_lg_u64 s[20:21], 0
	v_cmp_nlt_f32_e32 vcc, 0, v3
	s_mov_b64 s[4:5], 0
	s_cselect_b64 s[2:3], -1, 0
	s_mov_b64 s[6:7], -1
	s_cbranch_vccz .LBB0_14
; %bb.12:
	v_mov_b32_e32 v4, 1.0
	v_mov_b32_e32 v8, v5
	v_mov_b32_e32 v9, v5
	s_mov_b64 s[6:7], 0
	s_and_b64 vcc, exec, s[2:3]
	ds_write_b64 v5, v[4:5]
	global_store_dwordx2 v5, v[8:9], s[14:15]
	s_cbranch_vccz .LBB0_14
; %bb.13:
	v_mov_b32_e32 v3, 0
	global_load_dword v5, v3, s[16:17]
	s_mov_b64 s[4:5], -1
	s_waitcnt vmcnt(0)
	global_store_dword v3, v5, s[20:21]
	global_store_dword v3, v4, s[16:17]
.LBB0_14:
	s_and_b64 vcc, exec, s[6:7]
	s_cbranch_vccz .LBB0_19
; %bb.15:
	v_mov_b32_e32 v3, 0
	global_load_dword v5, v3, s[16:17]
	s_mov_b32 s4, 0xf800000
	v_mov_b32_e32 v7, 0x260
	s_and_b64 s[2:3], exec, s[2:3]
	s_waitcnt vmcnt(0)
	v_fma_f32 v4, v5, v5, v1
	v_add_f32_e32 v4, v6, v4
	v_mul_f32_e32 v6, 0x4f800000, v4
	v_cmp_gt_f32_e32 vcc, s4, v4
	s_nop 1
	v_cndmask_b32_e32 v4, v4, v6, vcc
	v_sqrt_f32_e32 v6, v4
	s_nop 0
	v_add_u32_e32 v8, -1, v6
	v_add_u32_e32 v9, 1, v6
	v_fma_f32 v10, -v8, v6, v4
	v_fma_f32 v11, -v9, v6, v4
	v_cmp_ge_f32_e64 s[4:5], 0, v10
	s_nop 1
	v_cndmask_b32_e64 v6, v6, v8, s[4:5]
	v_cmp_lt_f32_e64 s[4:5], 0, v11
	s_nop 1
	v_cndmask_b32_e64 v6, v6, v9, s[4:5]
	v_mul_f32_e32 v8, 0x37800000, v6
	v_cndmask_b32_e32 v6, v6, v8, vcc
	v_cmp_class_f32_e32 vcc, v4, v7
	s_nop 1
	v_cndmask_b32_e32 v4, v6, v4, vcc
	v_cmp_le_f32_e32 vcc, 0, v5
	s_nop 1
	v_cndmask_b32_e64 v4, v4, -v4, vcc
	v_sub_f32_e32 v6, v5, v4
	v_sub_f32_e32 v5, v4, v5
	v_div_scale_f32 v7, s[4:5], v4, v4, -s19
	v_fmac_f32_e32 v1, v6, v6
	v_div_scale_f32 v9, s[6:7], v4, v4, v5
	v_rcp_f32_e32 v11, v7
	v_div_scale_f32 v12, s[8:9], v1, v1, v6
	v_div_scale_f32 v14, s[8:9], v1, v1, -s19
	v_rcp_f32_e32 v16, v9
	v_rcp_f32_e32 v17, v12
	;; [unrolled: 1-line block ×3, first 2 shown]
	v_fma_f32 v19, -v7, v11, 1.0
	v_div_scale_f32 v8, s[4:5], -s19, v4, -s19
	v_fma_f32 v20, -v9, v16, 1.0
	v_fmac_f32_e32 v11, v19, v11
	v_fma_f32 v19, -v12, v17, 1.0
	v_div_scale_f32 v13, vcc, v6, v1, v6
	v_fma_f32 v21, -v14, v18, 1.0
	v_fmac_f32_e32 v16, v20, v16
	v_mul_f32_e32 v20, v8, v11
	v_fmac_f32_e32 v17, v19, v17
	v_div_scale_f32 v10, s[6:7], v5, v4, v5
	v_div_scale_f32 v15, s[8:9], -s19, v1, -s19
	v_fmac_f32_e32 v18, v21, v18
	v_fma_f32 v21, -v7, v20, v8
	v_mul_f32_e32 v22, v13, v17
	v_mul_f32_e32 v19, v10, v16
	;; [unrolled: 1-line block ×3, first 2 shown]
	v_fmac_f32_e32 v20, v21, v11
	v_fma_f32 v21, -v12, v22, v13
	v_fma_f32 v24, -v9, v19, v10
	;; [unrolled: 1-line block ×3, first 2 shown]
	v_fmac_f32_e32 v22, v21, v17
	v_fmac_f32_e32 v19, v24, v16
	v_fma_f32 v8, -v7, v20, v8
	v_fmac_f32_e32 v23, v25, v18
	v_fma_f32 v7, -v12, v22, v13
	v_fma_f32 v9, -v9, v19, v10
	;; [unrolled: 1-line block ×3, first 2 shown]
	v_div_fmas_f32 v7, v7, v17, v22
	s_mov_b64 vcc, s[8:9]
	v_div_fixup_f32 v6, v7, v1, v6
	v_div_fmas_f32 v7, v10, v18, v23
	s_mov_b64 vcc, s[6:7]
	v_div_fixup_f32 v7, v7, v1, -s19
	v_div_fmas_f32 v1, v9, v16, v19
	s_mov_b64 vcc, s[4:5]
	ds_write_b64 v3, v[6:7]
	v_div_fixup_f32 v6, v1, v4, v5
	v_div_fmas_f32 v1, v8, v11, v20
	v_div_fixup_f32 v7, v1, v4, -s19
	s_mov_b64 vcc, s[2:3]
	global_store_dwordx2 v3, v[6:7], s[14:15]
	s_cbranch_vccz .LBB0_25
; %bb.16:
	v_mov_b32_e32 v1, 1.0
	global_store_dword v3, v4, s[20:21]
	global_store_dword v3, v1, s[16:17]
	s_cbranch_execnz .LBB0_18
.LBB0_17:
	v_mov_b32_e32 v1, 0
	global_store_dword v1, v4, s[16:17]
.LBB0_18:
	s_mov_b64 s[4:5], -1
.LBB0_19:
	s_andn2_b64 vcc, exec, s[4:5]
	s_cbranch_vccnz .LBB0_21
; %bb.20:
	v_mov_b32_e32 v1, 0
	global_store_dword v1, v1, s[16:17] offset:4
.LBB0_21:
	s_or_b64 exec, exec, s[12:13]
	s_waitcnt lgkmcnt(0)
	; wave barrier
	s_and_saveexec_b64 s[2:3], s[0:1]
	s_cbranch_execz .LBB0_24
; %bb.22:
	v_mov_b32_e32 v1, 0
	ds_read_b64 v[4:5], v1
	s_lshl_b32 s2, s24, 6
	s_mov_b64 s[0:1], 0
	s_waitcnt lgkmcnt(0)
	v_mov_b32_e32 v6, v5
	v_mov_b32_e32 v7, v4
.LBB0_23:                               ; =>This Inner Loop Header: Depth=1
	v_ashrrev_i32_e32 v3, 31, v2
	v_lshl_add_u64 v[8:9], v[2:3], 3, s[10:11]
	global_load_dwordx2 v[10:11], v[8:9], off
	v_add_u32_e32 v0, 64, v0
	v_cmp_le_i32_e32 vcc, s18, v0
	s_or_b64 s[0:1], vcc, s[0:1]
	v_add_u32_e32 v2, s2, v2
	s_waitcnt vmcnt(0)
	v_pk_mul_f32 v[12:13], v[6:7], v[10:11] op_sel:[0,1]
	s_nop 0
	v_pk_fma_f32 v[14:15], v[4:5], v[10:11], v[12:13] neg_lo:[0,0,1] neg_hi:[0,0,1]
	v_pk_fma_f32 v[10:11], v[4:5], v[10:11], v[12:13] op_sel_hi:[1,0,1]
	s_nop 0
	v_mov_b32_e32 v15, v11
	global_store_dwordx2 v[8:9], v[14:15], off
	s_andn2_b64 exec, exec, s[0:1]
	s_cbranch_execnz .LBB0_23
.LBB0_24:
	s_endpgm
.LBB0_25:
	s_branch .LBB0_17
	.section	.rodata,"a",@progbits
	.p2align	6, 0x0
	.amdhsa_kernel _ZN9rocsolver6v33100L18larfg_kernel_smallILi64E19rocblas_complex_numIfEifPS3_EEvT1_T3_llPT2_llS6_lS5_lPT0_l
		.amdhsa_group_segment_fixed_size 8
		.amdhsa_private_segment_fixed_size 0
		.amdhsa_kernarg_size 104
		.amdhsa_user_sgpr_count 2
		.amdhsa_user_sgpr_dispatch_ptr 0
		.amdhsa_user_sgpr_queue_ptr 0
		.amdhsa_user_sgpr_kernarg_segment_ptr 1
		.amdhsa_user_sgpr_dispatch_id 0
		.amdhsa_user_sgpr_kernarg_preload_length 0
		.amdhsa_user_sgpr_kernarg_preload_offset 0
		.amdhsa_user_sgpr_private_segment_size 0
		.amdhsa_uses_dynamic_stack 0
		.amdhsa_enable_private_segment 0
		.amdhsa_system_sgpr_workgroup_id_x 1
		.amdhsa_system_sgpr_workgroup_id_y 0
		.amdhsa_system_sgpr_workgroup_id_z 1
		.amdhsa_system_sgpr_workgroup_info 0
		.amdhsa_system_vgpr_workitem_id 0
		.amdhsa_next_free_vgpr 26
		.amdhsa_next_free_sgpr 26
		.amdhsa_accum_offset 28
		.amdhsa_reserve_vcc 1
		.amdhsa_float_round_mode_32 0
		.amdhsa_float_round_mode_16_64 0
		.amdhsa_float_denorm_mode_32 3
		.amdhsa_float_denorm_mode_16_64 3
		.amdhsa_dx10_clamp 1
		.amdhsa_ieee_mode 1
		.amdhsa_fp16_overflow 0
		.amdhsa_tg_split 0
		.amdhsa_exception_fp_ieee_invalid_op 0
		.amdhsa_exception_fp_denorm_src 0
		.amdhsa_exception_fp_ieee_div_zero 0
		.amdhsa_exception_fp_ieee_overflow 0
		.amdhsa_exception_fp_ieee_underflow 0
		.amdhsa_exception_fp_ieee_inexact 0
		.amdhsa_exception_int_div_zero 0
	.end_amdhsa_kernel
	.section	.text._ZN9rocsolver6v33100L18larfg_kernel_smallILi64E19rocblas_complex_numIfEifPS3_EEvT1_T3_llPT2_llS6_lS5_lPT0_l,"axG",@progbits,_ZN9rocsolver6v33100L18larfg_kernel_smallILi64E19rocblas_complex_numIfEifPS3_EEvT1_T3_llPT2_llS6_lS5_lPT0_l,comdat
.Lfunc_end0:
	.size	_ZN9rocsolver6v33100L18larfg_kernel_smallILi64E19rocblas_complex_numIfEifPS3_EEvT1_T3_llPT2_llS6_lS5_lPT0_l, .Lfunc_end0-_ZN9rocsolver6v33100L18larfg_kernel_smallILi64E19rocblas_complex_numIfEifPS3_EEvT1_T3_llPT2_llS6_lS5_lPT0_l
                                        ; -- End function
	.set _ZN9rocsolver6v33100L18larfg_kernel_smallILi64E19rocblas_complex_numIfEifPS3_EEvT1_T3_llPT2_llS6_lS5_lPT0_l.num_vgpr, 26
	.set _ZN9rocsolver6v33100L18larfg_kernel_smallILi64E19rocblas_complex_numIfEifPS3_EEvT1_T3_llPT2_llS6_lS5_lPT0_l.num_agpr, 0
	.set _ZN9rocsolver6v33100L18larfg_kernel_smallILi64E19rocblas_complex_numIfEifPS3_EEvT1_T3_llPT2_llS6_lS5_lPT0_l.numbered_sgpr, 26
	.set _ZN9rocsolver6v33100L18larfg_kernel_smallILi64E19rocblas_complex_numIfEifPS3_EEvT1_T3_llPT2_llS6_lS5_lPT0_l.num_named_barrier, 0
	.set _ZN9rocsolver6v33100L18larfg_kernel_smallILi64E19rocblas_complex_numIfEifPS3_EEvT1_T3_llPT2_llS6_lS5_lPT0_l.private_seg_size, 0
	.set _ZN9rocsolver6v33100L18larfg_kernel_smallILi64E19rocblas_complex_numIfEifPS3_EEvT1_T3_llPT2_llS6_lS5_lPT0_l.uses_vcc, 1
	.set _ZN9rocsolver6v33100L18larfg_kernel_smallILi64E19rocblas_complex_numIfEifPS3_EEvT1_T3_llPT2_llS6_lS5_lPT0_l.uses_flat_scratch, 0
	.set _ZN9rocsolver6v33100L18larfg_kernel_smallILi64E19rocblas_complex_numIfEifPS3_EEvT1_T3_llPT2_llS6_lS5_lPT0_l.has_dyn_sized_stack, 0
	.set _ZN9rocsolver6v33100L18larfg_kernel_smallILi64E19rocblas_complex_numIfEifPS3_EEvT1_T3_llPT2_llS6_lS5_lPT0_l.has_recursion, 0
	.set _ZN9rocsolver6v33100L18larfg_kernel_smallILi64E19rocblas_complex_numIfEifPS3_EEvT1_T3_llPT2_llS6_lS5_lPT0_l.has_indirect_call, 0
	.section	.AMDGPU.csdata,"",@progbits
; Kernel info:
; codeLenInByte = 1636
; TotalNumSgprs: 32
; NumVgprs: 26
; NumAgprs: 0
; TotalNumVgprs: 26
; ScratchSize: 0
; MemoryBound: 0
; FloatMode: 240
; IeeeMode: 1
; LDSByteSize: 8 bytes/workgroup (compile time only)
; SGPRBlocks: 3
; VGPRBlocks: 3
; NumSGPRsForWavesPerEU: 32
; NumVGPRsForWavesPerEU: 26
; AccumOffset: 28
; Occupancy: 8
; WaveLimiterHint : 1
; COMPUTE_PGM_RSRC2:SCRATCH_EN: 0
; COMPUTE_PGM_RSRC2:USER_SGPR: 2
; COMPUTE_PGM_RSRC2:TRAP_HANDLER: 0
; COMPUTE_PGM_RSRC2:TGID_X_EN: 1
; COMPUTE_PGM_RSRC2:TGID_Y_EN: 0
; COMPUTE_PGM_RSRC2:TGID_Z_EN: 1
; COMPUTE_PGM_RSRC2:TIDIG_COMP_CNT: 0
; COMPUTE_PGM_RSRC3_GFX90A:ACCUM_OFFSET: 6
; COMPUTE_PGM_RSRC3_GFX90A:TG_SPLIT: 0
	.section	.text._ZN9rocsolver6v33100L18larfg_kernel_smallILi128E19rocblas_complex_numIfEifPS3_EEvT1_T3_llPT2_llS6_lS5_lPT0_l,"axG",@progbits,_ZN9rocsolver6v33100L18larfg_kernel_smallILi128E19rocblas_complex_numIfEifPS3_EEvT1_T3_llPT2_llS6_lS5_lPT0_l,comdat
	.globl	_ZN9rocsolver6v33100L18larfg_kernel_smallILi128E19rocblas_complex_numIfEifPS3_EEvT1_T3_llPT2_llS6_lS5_lPT0_l ; -- Begin function _ZN9rocsolver6v33100L18larfg_kernel_smallILi128E19rocblas_complex_numIfEifPS3_EEvT1_T3_llPT2_llS6_lS5_lPT0_l
	.p2align	8
	.type	_ZN9rocsolver6v33100L18larfg_kernel_smallILi128E19rocblas_complex_numIfEifPS3_EEvT1_T3_llPT2_llS6_lS5_lPT0_l,@function
_ZN9rocsolver6v33100L18larfg_kernel_smallILi128E19rocblas_complex_numIfEifPS3_EEvT1_T3_llPT2_llS6_lS5_lPT0_l: ; @_ZN9rocsolver6v33100L18larfg_kernel_smallILi128E19rocblas_complex_numIfEifPS3_EEvT1_T3_llPT2_llS6_lS5_lPT0_l
; %bb.0:
	s_load_dwordx16 s[4:19], s[0:1], 0x8
	s_ashr_i32 s2, s3, 31
	s_mov_b64 s[20:21], 0
	s_waitcnt lgkmcnt(0)
	s_cmp_eq_u64 s[10:11], 0
	s_cbranch_scc1 .LBB1_2
; %bb.1:
	s_mul_i32 s20, s14, s2
	s_mul_hi_u32 s21, s14, s3
	s_add_i32 s20, s21, s20
	s_mul_i32 s15, s15, s3
	s_add_i32 s15, s20, s15
	s_mul_i32 s14, s14, s3
	s_lshl_b64 s[14:15], s[14:15], 2
	s_add_u32 s14, s10, s14
	s_addc_u32 s15, s11, s15
	s_lshl_b64 s[10:11], s[12:13], 2
	s_add_u32 s20, s14, s10
	s_addc_u32 s21, s15, s11
.LBB1_2:
	s_load_dwordx4 s[12:15], s[0:1], 0x50
	s_load_dword s25, s[0:1], 0x0
	s_load_dword s24, s[0:1], 0x48
	s_load_dwordx2 s[22:23], s[0:1], 0x60
	v_mov_b32_e32 v5, 0
	s_waitcnt lgkmcnt(0)
	s_mul_i32 s0, s12, s2
	s_mul_hi_u32 s1, s12, s3
	s_add_i32 s0, s1, s0
	s_mul_i32 s1, s13, s3
	s_add_i32 s1, s0, s1
	s_mul_i32 s0, s12, s3
	s_lshl_b64 s[0:1], s[0:1], 3
	s_add_u32 s10, s16, s0
	s_addc_u32 s11, s17, s1
	s_lshl_b64 s[0:1], s[18:19], 3
	s_add_u32 s10, s10, s0
	s_addc_u32 s11, s11, s1
	s_add_i32 s18, s25, -1
	v_cmp_gt_i32_e64 s[0:1], s18, v0
	v_mul_lo_u32 v2, v0, s24
	v_mov_b32_e32 v4, v5
	s_and_saveexec_b64 s[12:13], s[0:1]
	s_cbranch_execz .LBB1_6
; %bb.3:
	v_mov_b32_e32 v4, 0
	v_mul_lo_u32 v6, v0, s24
	s_lshl_b32 s19, s24, 7
	s_mov_b64 s[16:17], 0
	v_mov_b32_e32 v1, v0
	v_mov_b32_e32 v5, v4
.LBB1_4:                                ; =>This Inner Loop Header: Depth=1
	v_ashrrev_i32_e32 v7, 31, v6
	v_lshl_add_u64 v[8:9], v[6:7], 3, s[10:11]
	global_load_dwordx2 v[8:9], v[8:9], off
	v_add_u32_e32 v1, 0x80, v1
	v_cmp_le_i32_e32 vcc, s18, v1
	s_or_b64 s[16:17], vcc, s[16:17]
	v_add_u32_e32 v6, s19, v6
	s_waitcnt vmcnt(0)
	v_pk_mul_f32 v[10:11], v[8:9], v[8:9] op_sel:[1,1] op_sel_hi:[0,1]
	v_pk_fma_f32 v[12:13], v[8:9], v[8:9], v[10:11]
	v_pk_fma_f32 v[8:9], v[8:9], v[8:9], v[10:11] op_sel_hi:[0,1,1] neg_lo:[0,0,1] neg_hi:[0,0,1]
	v_mov_b32_e32 v13, v9
	v_pk_add_f32 v[4:5], v[4:5], v[12:13]
	s_andn2_b64 exec, exec, s[16:17]
	s_cbranch_execnz .LBB1_4
; %bb.5:
	s_or_b64 exec, exec, s[16:17]
.LBB1_6:
	s_or_b64 exec, exec, s[12:13]
	v_mbcnt_lo_u32_b32 v1, -1, 0
	v_mbcnt_hi_u32_b32 v1, -1, v1
	v_and_b32_e32 v3, 63, v1
	v_cmp_ne_u32_e32 vcc, 63, v3
	s_nop 1
	v_addc_co_u32_e32 v6, vcc, 0, v1, vcc
	v_lshlrev_b32_e32 v7, 2, v6
	ds_bpermute_b32 v6, v7, v4
	ds_bpermute_b32 v7, v7, v5
	v_cmp_gt_u32_e32 vcc, 62, v3
	s_waitcnt lgkmcnt(0)
	v_pk_add_f32 v[4:5], v[4:5], v[6:7]
	v_cndmask_b32_e64 v8, 0, 2, vcc
	v_add_lshl_u32 v8, v8, v1, 2
	ds_bpermute_b32 v6, v8, v4
	ds_bpermute_b32 v7, v8, v5
	v_cmp_gt_u32_e32 vcc, 60, v3
	s_waitcnt lgkmcnt(0)
	v_pk_add_f32 v[4:5], v[4:5], v[6:7]
	v_cndmask_b32_e64 v8, 0, 4, vcc
	v_add_lshl_u32 v8, v8, v1, 2
	;; [unrolled: 7-line block ×4, first 2 shown]
	ds_bpermute_b32 v6, v3, v4
	ds_bpermute_b32 v7, v3, v5
	v_mov_b32_e32 v3, 0x80
	v_lshl_or_b32 v1, v1, 2, v3
	s_waitcnt lgkmcnt(0)
	v_pk_add_f32 v[4:5], v[4:5], v[6:7]
	ds_bpermute_b32 v6, v1, v4
	ds_bpermute_b32 v7, v1, v5
	v_and_b32_e32 v1, 63, v0
	v_cmp_eq_u32_e32 vcc, 0, v1
	s_waitcnt lgkmcnt(0)
	v_pk_add_f32 v[4:5], v[4:5], v[6:7]
	s_and_saveexec_b64 s[12:13], vcc
; %bb.7:
	v_lshrrev_b32_e32 v1, 3, v0
	ds_write_b64 v1, v[4:5]
; %bb.8:
	s_or_b64 exec, exec, s[12:13]
	v_cmp_eq_u32_e32 vcc, 0, v0
	s_waitcnt lgkmcnt(0)
	s_barrier
	s_and_saveexec_b64 s[12:13], vcc
	s_cbranch_execz .LBB1_10
; %bb.9:
	v_mov_b32_e32 v1, 0
	ds_read_b64 v[6:7], v1 offset:8
	s_waitcnt lgkmcnt(0)
	v_pk_add_f32 v[4:5], v[4:5], v[6:7]
	ds_write_b64 v1, v[4:5]
.LBB1_10:
	s_or_b64 exec, exec, s[12:13]
	s_waitcnt lgkmcnt(0)
	s_barrier
	s_and_saveexec_b64 s[12:13], vcc
	s_cbranch_execz .LBB1_21
; %bb.11:
	s_mul_i32 s16, s8, s2
	s_mul_hi_u32 s17, s8, s3
	s_add_i32 s16, s17, s16
	s_mul_i32 s9, s9, s3
	s_add_i32 s9, s16, s9
	s_mul_i32 s8, s8, s3
	s_lshl_b64 s[8:9], s[8:9], 3
	s_add_u32 s8, s4, s8
	s_addc_u32 s9, s5, s9
	s_lshl_b64 s[4:5], s[6:7], 3
	s_add_u32 s16, s8, s4
	s_addc_u32 s17, s9, s5
	v_mov_b32_e32 v5, 0
	s_load_dword s19, s[16:17], 0x4
	ds_read_b32 v6, v5
	s_mul_i32 s2, s22, s2
	s_mul_hi_u32 s4, s22, s3
	s_add_i32 s2, s4, s2
	s_mul_i32 s4, s23, s3
	s_add_i32 s5, s2, s4
	s_mul_i32 s4, s22, s3
	s_lshl_b64 s[2:3], s[4:5], 3
	s_add_u32 s14, s14, s2
	s_waitcnt lgkmcnt(0)
	v_mul_f32_e64 v1, s19, s19
	v_max_f32_e32 v3, v6, v6
	s_addc_u32 s15, s15, s3
	v_max_f32_e32 v3, v3, v1
	s_cmp_lg_u64 s[20:21], 0
	v_cmp_nlt_f32_e32 vcc, 0, v3
	s_mov_b64 s[4:5], 0
	s_cselect_b64 s[2:3], -1, 0
	s_mov_b64 s[6:7], -1
	s_cbranch_vccz .LBB1_14
; %bb.12:
	v_mov_b32_e32 v4, 1.0
	v_mov_b32_e32 v8, v5
	v_mov_b32_e32 v9, v5
	s_mov_b64 s[6:7], 0
	s_and_b64 vcc, exec, s[2:3]
	ds_write_b64 v5, v[4:5]
	global_store_dwordx2 v5, v[8:9], s[14:15]
	s_cbranch_vccz .LBB1_14
; %bb.13:
	v_mov_b32_e32 v3, 0
	global_load_dword v5, v3, s[16:17]
	s_mov_b64 s[4:5], -1
	s_waitcnt vmcnt(0)
	global_store_dword v3, v5, s[20:21]
	global_store_dword v3, v4, s[16:17]
.LBB1_14:
	s_and_b64 vcc, exec, s[6:7]
	s_cbranch_vccz .LBB1_19
; %bb.15:
	v_mov_b32_e32 v3, 0
	global_load_dword v5, v3, s[16:17]
	s_mov_b32 s4, 0xf800000
	v_mov_b32_e32 v7, 0x260
	s_and_b64 s[2:3], exec, s[2:3]
	s_waitcnt vmcnt(0)
	v_fma_f32 v4, v5, v5, v1
	v_add_f32_e32 v4, v6, v4
	v_mul_f32_e32 v6, 0x4f800000, v4
	v_cmp_gt_f32_e32 vcc, s4, v4
	s_nop 1
	v_cndmask_b32_e32 v4, v4, v6, vcc
	v_sqrt_f32_e32 v6, v4
	s_nop 0
	v_add_u32_e32 v8, -1, v6
	v_add_u32_e32 v9, 1, v6
	v_fma_f32 v10, -v8, v6, v4
	v_fma_f32 v11, -v9, v6, v4
	v_cmp_ge_f32_e64 s[4:5], 0, v10
	s_nop 1
	v_cndmask_b32_e64 v6, v6, v8, s[4:5]
	v_cmp_lt_f32_e64 s[4:5], 0, v11
	s_nop 1
	v_cndmask_b32_e64 v6, v6, v9, s[4:5]
	v_mul_f32_e32 v8, 0x37800000, v6
	v_cndmask_b32_e32 v6, v6, v8, vcc
	v_cmp_class_f32_e32 vcc, v4, v7
	s_nop 1
	v_cndmask_b32_e32 v4, v6, v4, vcc
	v_cmp_le_f32_e32 vcc, 0, v5
	s_nop 1
	v_cndmask_b32_e64 v4, v4, -v4, vcc
	v_sub_f32_e32 v6, v5, v4
	v_sub_f32_e32 v5, v4, v5
	v_div_scale_f32 v7, s[4:5], v4, v4, -s19
	v_fmac_f32_e32 v1, v6, v6
	v_div_scale_f32 v9, s[6:7], v4, v4, v5
	v_rcp_f32_e32 v11, v7
	v_div_scale_f32 v12, s[8:9], v1, v1, v6
	v_div_scale_f32 v14, s[8:9], v1, v1, -s19
	v_rcp_f32_e32 v16, v9
	v_rcp_f32_e32 v17, v12
	;; [unrolled: 1-line block ×3, first 2 shown]
	v_fma_f32 v19, -v7, v11, 1.0
	v_div_scale_f32 v8, s[4:5], -s19, v4, -s19
	v_fma_f32 v20, -v9, v16, 1.0
	v_fmac_f32_e32 v11, v19, v11
	v_fma_f32 v19, -v12, v17, 1.0
	v_div_scale_f32 v13, vcc, v6, v1, v6
	v_fma_f32 v21, -v14, v18, 1.0
	v_fmac_f32_e32 v16, v20, v16
	v_mul_f32_e32 v20, v8, v11
	v_fmac_f32_e32 v17, v19, v17
	v_div_scale_f32 v10, s[6:7], v5, v4, v5
	v_div_scale_f32 v15, s[8:9], -s19, v1, -s19
	v_fmac_f32_e32 v18, v21, v18
	v_fma_f32 v21, -v7, v20, v8
	v_mul_f32_e32 v22, v13, v17
	v_mul_f32_e32 v19, v10, v16
	;; [unrolled: 1-line block ×3, first 2 shown]
	v_fmac_f32_e32 v20, v21, v11
	v_fma_f32 v21, -v12, v22, v13
	v_fma_f32 v24, -v9, v19, v10
	;; [unrolled: 1-line block ×3, first 2 shown]
	v_fmac_f32_e32 v22, v21, v17
	v_fmac_f32_e32 v19, v24, v16
	v_fma_f32 v8, -v7, v20, v8
	v_fmac_f32_e32 v23, v25, v18
	v_fma_f32 v7, -v12, v22, v13
	v_fma_f32 v9, -v9, v19, v10
	;; [unrolled: 1-line block ×3, first 2 shown]
	v_div_fmas_f32 v7, v7, v17, v22
	s_mov_b64 vcc, s[8:9]
	v_div_fixup_f32 v6, v7, v1, v6
	v_div_fmas_f32 v7, v10, v18, v23
	s_mov_b64 vcc, s[6:7]
	v_div_fixup_f32 v7, v7, v1, -s19
	v_div_fmas_f32 v1, v9, v16, v19
	s_mov_b64 vcc, s[4:5]
	ds_write_b64 v3, v[6:7]
	v_div_fixup_f32 v6, v1, v4, v5
	v_div_fmas_f32 v1, v8, v11, v20
	v_div_fixup_f32 v7, v1, v4, -s19
	s_mov_b64 vcc, s[2:3]
	global_store_dwordx2 v3, v[6:7], s[14:15]
	s_cbranch_vccz .LBB1_25
; %bb.16:
	v_mov_b32_e32 v1, 1.0
	global_store_dword v3, v4, s[20:21]
	global_store_dword v3, v1, s[16:17]
	s_cbranch_execnz .LBB1_18
.LBB1_17:
	v_mov_b32_e32 v1, 0
	global_store_dword v1, v4, s[16:17]
.LBB1_18:
	s_mov_b64 s[4:5], -1
.LBB1_19:
	s_andn2_b64 vcc, exec, s[4:5]
	s_cbranch_vccnz .LBB1_21
; %bb.20:
	v_mov_b32_e32 v1, 0
	global_store_dword v1, v1, s[16:17] offset:4
.LBB1_21:
	s_or_b64 exec, exec, s[12:13]
	s_waitcnt lgkmcnt(0)
	s_barrier
	s_and_saveexec_b64 s[2:3], s[0:1]
	s_cbranch_execz .LBB1_24
; %bb.22:
	v_mov_b32_e32 v1, 0
	ds_read_b64 v[4:5], v1
	s_lshl_b32 s2, s24, 7
	s_mov_b64 s[0:1], 0
	s_waitcnt lgkmcnt(0)
	v_mov_b32_e32 v6, v5
	v_mov_b32_e32 v7, v4
.LBB1_23:                               ; =>This Inner Loop Header: Depth=1
	v_ashrrev_i32_e32 v3, 31, v2
	v_lshl_add_u64 v[8:9], v[2:3], 3, s[10:11]
	global_load_dwordx2 v[10:11], v[8:9], off
	v_add_u32_e32 v0, 0x80, v0
	v_cmp_le_i32_e32 vcc, s18, v0
	s_or_b64 s[0:1], vcc, s[0:1]
	v_add_u32_e32 v2, s2, v2
	s_waitcnt vmcnt(0)
	v_pk_mul_f32 v[12:13], v[6:7], v[10:11] op_sel:[0,1]
	s_nop 0
	v_pk_fma_f32 v[14:15], v[4:5], v[10:11], v[12:13] neg_lo:[0,0,1] neg_hi:[0,0,1]
	v_pk_fma_f32 v[10:11], v[4:5], v[10:11], v[12:13] op_sel_hi:[1,0,1]
	s_nop 0
	v_mov_b32_e32 v15, v11
	global_store_dwordx2 v[8:9], v[14:15], off
	s_andn2_b64 exec, exec, s[0:1]
	s_cbranch_execnz .LBB1_23
.LBB1_24:
	s_endpgm
.LBB1_25:
	s_branch .LBB1_17
	.section	.rodata,"a",@progbits
	.p2align	6, 0x0
	.amdhsa_kernel _ZN9rocsolver6v33100L18larfg_kernel_smallILi128E19rocblas_complex_numIfEifPS3_EEvT1_T3_llPT2_llS6_lS5_lPT0_l
		.amdhsa_group_segment_fixed_size 16
		.amdhsa_private_segment_fixed_size 0
		.amdhsa_kernarg_size 104
		.amdhsa_user_sgpr_count 2
		.amdhsa_user_sgpr_dispatch_ptr 0
		.amdhsa_user_sgpr_queue_ptr 0
		.amdhsa_user_sgpr_kernarg_segment_ptr 1
		.amdhsa_user_sgpr_dispatch_id 0
		.amdhsa_user_sgpr_kernarg_preload_length 0
		.amdhsa_user_sgpr_kernarg_preload_offset 0
		.amdhsa_user_sgpr_private_segment_size 0
		.amdhsa_uses_dynamic_stack 0
		.amdhsa_enable_private_segment 0
		.amdhsa_system_sgpr_workgroup_id_x 1
		.amdhsa_system_sgpr_workgroup_id_y 0
		.amdhsa_system_sgpr_workgroup_id_z 1
		.amdhsa_system_sgpr_workgroup_info 0
		.amdhsa_system_vgpr_workitem_id 0
		.amdhsa_next_free_vgpr 26
		.amdhsa_next_free_sgpr 26
		.amdhsa_accum_offset 28
		.amdhsa_reserve_vcc 1
		.amdhsa_float_round_mode_32 0
		.amdhsa_float_round_mode_16_64 0
		.amdhsa_float_denorm_mode_32 3
		.amdhsa_float_denorm_mode_16_64 3
		.amdhsa_dx10_clamp 1
		.amdhsa_ieee_mode 1
		.amdhsa_fp16_overflow 0
		.amdhsa_tg_split 0
		.amdhsa_exception_fp_ieee_invalid_op 0
		.amdhsa_exception_fp_denorm_src 0
		.amdhsa_exception_fp_ieee_div_zero 0
		.amdhsa_exception_fp_ieee_overflow 0
		.amdhsa_exception_fp_ieee_underflow 0
		.amdhsa_exception_fp_ieee_inexact 0
		.amdhsa_exception_int_div_zero 0
	.end_amdhsa_kernel
	.section	.text._ZN9rocsolver6v33100L18larfg_kernel_smallILi128E19rocblas_complex_numIfEifPS3_EEvT1_T3_llPT2_llS6_lS5_lPT0_l,"axG",@progbits,_ZN9rocsolver6v33100L18larfg_kernel_smallILi128E19rocblas_complex_numIfEifPS3_EEvT1_T3_llPT2_llS6_lS5_lPT0_l,comdat
.Lfunc_end1:
	.size	_ZN9rocsolver6v33100L18larfg_kernel_smallILi128E19rocblas_complex_numIfEifPS3_EEvT1_T3_llPT2_llS6_lS5_lPT0_l, .Lfunc_end1-_ZN9rocsolver6v33100L18larfg_kernel_smallILi128E19rocblas_complex_numIfEifPS3_EEvT1_T3_llPT2_llS6_lS5_lPT0_l
                                        ; -- End function
	.set _ZN9rocsolver6v33100L18larfg_kernel_smallILi128E19rocblas_complex_numIfEifPS3_EEvT1_T3_llPT2_llS6_lS5_lPT0_l.num_vgpr, 26
	.set _ZN9rocsolver6v33100L18larfg_kernel_smallILi128E19rocblas_complex_numIfEifPS3_EEvT1_T3_llPT2_llS6_lS5_lPT0_l.num_agpr, 0
	.set _ZN9rocsolver6v33100L18larfg_kernel_smallILi128E19rocblas_complex_numIfEifPS3_EEvT1_T3_llPT2_llS6_lS5_lPT0_l.numbered_sgpr, 26
	.set _ZN9rocsolver6v33100L18larfg_kernel_smallILi128E19rocblas_complex_numIfEifPS3_EEvT1_T3_llPT2_llS6_lS5_lPT0_l.num_named_barrier, 0
	.set _ZN9rocsolver6v33100L18larfg_kernel_smallILi128E19rocblas_complex_numIfEifPS3_EEvT1_T3_llPT2_llS6_lS5_lPT0_l.private_seg_size, 0
	.set _ZN9rocsolver6v33100L18larfg_kernel_smallILi128E19rocblas_complex_numIfEifPS3_EEvT1_T3_llPT2_llS6_lS5_lPT0_l.uses_vcc, 1
	.set _ZN9rocsolver6v33100L18larfg_kernel_smallILi128E19rocblas_complex_numIfEifPS3_EEvT1_T3_llPT2_llS6_lS5_lPT0_l.uses_flat_scratch, 0
	.set _ZN9rocsolver6v33100L18larfg_kernel_smallILi128E19rocblas_complex_numIfEifPS3_EEvT1_T3_llPT2_llS6_lS5_lPT0_l.has_dyn_sized_stack, 0
	.set _ZN9rocsolver6v33100L18larfg_kernel_smallILi128E19rocblas_complex_numIfEifPS3_EEvT1_T3_llPT2_llS6_lS5_lPT0_l.has_recursion, 0
	.set _ZN9rocsolver6v33100L18larfg_kernel_smallILi128E19rocblas_complex_numIfEifPS3_EEvT1_T3_llPT2_llS6_lS5_lPT0_l.has_indirect_call, 0
	.section	.AMDGPU.csdata,"",@progbits
; Kernel info:
; codeLenInByte = 1684
; TotalNumSgprs: 32
; NumVgprs: 26
; NumAgprs: 0
; TotalNumVgprs: 26
; ScratchSize: 0
; MemoryBound: 0
; FloatMode: 240
; IeeeMode: 1
; LDSByteSize: 16 bytes/workgroup (compile time only)
; SGPRBlocks: 3
; VGPRBlocks: 3
; NumSGPRsForWavesPerEU: 32
; NumVGPRsForWavesPerEU: 26
; AccumOffset: 28
; Occupancy: 8
; WaveLimiterHint : 1
; COMPUTE_PGM_RSRC2:SCRATCH_EN: 0
; COMPUTE_PGM_RSRC2:USER_SGPR: 2
; COMPUTE_PGM_RSRC2:TRAP_HANDLER: 0
; COMPUTE_PGM_RSRC2:TGID_X_EN: 1
; COMPUTE_PGM_RSRC2:TGID_Y_EN: 0
; COMPUTE_PGM_RSRC2:TGID_Z_EN: 1
; COMPUTE_PGM_RSRC2:TIDIG_COMP_CNT: 0
; COMPUTE_PGM_RSRC3_GFX90A:ACCUM_OFFSET: 6
; COMPUTE_PGM_RSRC3_GFX90A:TG_SPLIT: 0
	.section	.text._ZN9rocsolver6v33100L18larfg_kernel_smallILi256E19rocblas_complex_numIfEifPS3_EEvT1_T3_llPT2_llS6_lS5_lPT0_l,"axG",@progbits,_ZN9rocsolver6v33100L18larfg_kernel_smallILi256E19rocblas_complex_numIfEifPS3_EEvT1_T3_llPT2_llS6_lS5_lPT0_l,comdat
	.globl	_ZN9rocsolver6v33100L18larfg_kernel_smallILi256E19rocblas_complex_numIfEifPS3_EEvT1_T3_llPT2_llS6_lS5_lPT0_l ; -- Begin function _ZN9rocsolver6v33100L18larfg_kernel_smallILi256E19rocblas_complex_numIfEifPS3_EEvT1_T3_llPT2_llS6_lS5_lPT0_l
	.p2align	8
	.type	_ZN9rocsolver6v33100L18larfg_kernel_smallILi256E19rocblas_complex_numIfEifPS3_EEvT1_T3_llPT2_llS6_lS5_lPT0_l,@function
_ZN9rocsolver6v33100L18larfg_kernel_smallILi256E19rocblas_complex_numIfEifPS3_EEvT1_T3_llPT2_llS6_lS5_lPT0_l: ; @_ZN9rocsolver6v33100L18larfg_kernel_smallILi256E19rocblas_complex_numIfEifPS3_EEvT1_T3_llPT2_llS6_lS5_lPT0_l
; %bb.0:
	s_load_dwordx16 s[4:19], s[0:1], 0x8
	s_ashr_i32 s2, s3, 31
	s_mov_b64 s[20:21], 0
	s_waitcnt lgkmcnt(0)
	s_cmp_eq_u64 s[10:11], 0
	s_cbranch_scc1 .LBB2_2
; %bb.1:
	s_mul_i32 s20, s14, s2
	s_mul_hi_u32 s21, s14, s3
	s_add_i32 s20, s21, s20
	s_mul_i32 s15, s15, s3
	s_add_i32 s15, s20, s15
	s_mul_i32 s14, s14, s3
	s_lshl_b64 s[14:15], s[14:15], 2
	s_add_u32 s14, s10, s14
	s_addc_u32 s15, s11, s15
	s_lshl_b64 s[10:11], s[12:13], 2
	s_add_u32 s20, s14, s10
	s_addc_u32 s21, s15, s11
.LBB2_2:
	s_load_dwordx4 s[12:15], s[0:1], 0x50
	s_load_dword s25, s[0:1], 0x0
	s_load_dword s24, s[0:1], 0x48
	s_load_dwordx2 s[22:23], s[0:1], 0x60
	v_mov_b32_e32 v5, 0
	s_waitcnt lgkmcnt(0)
	s_mul_i32 s0, s12, s2
	s_mul_hi_u32 s1, s12, s3
	s_add_i32 s0, s1, s0
	s_mul_i32 s1, s13, s3
	s_add_i32 s1, s0, s1
	s_mul_i32 s0, s12, s3
	s_lshl_b64 s[0:1], s[0:1], 3
	s_add_u32 s10, s16, s0
	s_addc_u32 s11, s17, s1
	s_lshl_b64 s[0:1], s[18:19], 3
	s_add_u32 s10, s10, s0
	s_addc_u32 s11, s11, s1
	s_add_i32 s18, s25, -1
	v_cmp_gt_i32_e64 s[0:1], s18, v0
	v_mul_lo_u32 v2, v0, s24
	v_mov_b32_e32 v4, v5
	s_and_saveexec_b64 s[12:13], s[0:1]
	s_cbranch_execz .LBB2_6
; %bb.3:
	v_mov_b32_e32 v5, 0
	v_mul_lo_u32 v6, v0, s24
	s_lshl_b32 s19, s24, 8
	s_mov_b64 s[16:17], 0
	v_mov_b32_e32 v1, v0
	v_mov_b32_e32 v4, v5
.LBB2_4:                                ; =>This Inner Loop Header: Depth=1
	v_ashrrev_i32_e32 v7, 31, v6
	v_lshl_add_u64 v[8:9], v[6:7], 3, s[10:11]
	global_load_dwordx2 v[8:9], v[8:9], off
	v_add_u32_e32 v1, 0x100, v1
	v_cmp_le_i32_e32 vcc, s18, v1
	s_or_b64 s[16:17], vcc, s[16:17]
	v_add_u32_e32 v6, s19, v6
	s_waitcnt vmcnt(0)
	v_pk_mul_f32 v[10:11], v[8:9], v[8:9] op_sel:[1,1] op_sel_hi:[0,1]
	v_pk_fma_f32 v[12:13], v[8:9], v[8:9], v[10:11]
	v_pk_fma_f32 v[8:9], v[8:9], v[8:9], v[10:11] op_sel_hi:[0,1,1] neg_lo:[0,0,1] neg_hi:[0,0,1]
	v_mov_b32_e32 v13, v9
	v_pk_add_f32 v[4:5], v[4:5], v[12:13]
	s_andn2_b64 exec, exec, s[16:17]
	s_cbranch_execnz .LBB2_4
; %bb.5:
	s_or_b64 exec, exec, s[16:17]
.LBB2_6:
	s_or_b64 exec, exec, s[12:13]
	v_mbcnt_lo_u32_b32 v1, -1, 0
	v_mbcnt_hi_u32_b32 v1, -1, v1
	v_and_b32_e32 v3, 63, v1
	v_cmp_ne_u32_e32 vcc, 63, v3
	s_nop 1
	v_addc_co_u32_e32 v6, vcc, 0, v1, vcc
	v_lshlrev_b32_e32 v7, 2, v6
	ds_bpermute_b32 v6, v7, v4
	ds_bpermute_b32 v7, v7, v5
	v_cmp_gt_u32_e32 vcc, 62, v3
	s_waitcnt lgkmcnt(0)
	v_pk_add_f32 v[4:5], v[4:5], v[6:7]
	v_cndmask_b32_e64 v8, 0, 2, vcc
	v_add_lshl_u32 v8, v8, v1, 2
	ds_bpermute_b32 v6, v8, v4
	ds_bpermute_b32 v7, v8, v5
	v_cmp_gt_u32_e32 vcc, 60, v3
	s_waitcnt lgkmcnt(0)
	v_pk_add_f32 v[4:5], v[4:5], v[6:7]
	v_cndmask_b32_e64 v8, 0, 4, vcc
	v_add_lshl_u32 v8, v8, v1, 2
	;; [unrolled: 7-line block ×4, first 2 shown]
	ds_bpermute_b32 v6, v3, v4
	ds_bpermute_b32 v7, v3, v5
	v_mov_b32_e32 v3, 0x80
	v_lshl_or_b32 v1, v1, 2, v3
	s_waitcnt lgkmcnt(0)
	v_pk_add_f32 v[4:5], v[4:5], v[6:7]
	ds_bpermute_b32 v6, v1, v4
	ds_bpermute_b32 v7, v1, v5
	v_and_b32_e32 v1, 63, v0
	v_cmp_eq_u32_e32 vcc, 0, v1
	s_waitcnt lgkmcnt(0)
	v_pk_add_f32 v[4:5], v[4:5], v[6:7]
	s_and_saveexec_b64 s[12:13], vcc
; %bb.7:
	v_lshrrev_b32_e32 v1, 3, v0
	ds_write_b64 v1, v[4:5]
; %bb.8:
	s_or_b64 exec, exec, s[12:13]
	v_cmp_eq_u32_e32 vcc, 0, v0
	s_waitcnt lgkmcnt(0)
	s_barrier
	s_and_saveexec_b64 s[12:13], vcc
	s_cbranch_execz .LBB2_10
; %bb.9:
	v_mov_b32_e32 v1, 0
	ds_read2_b64 v[6:9], v1 offset0:1 offset1:2
	ds_read_b64 v[10:11], v1 offset:24
	s_waitcnt lgkmcnt(1)
	v_pk_add_f32 v[4:5], v[4:5], v[6:7]
	s_nop 0
	v_pk_add_f32 v[4:5], v[4:5], v[8:9]
	s_waitcnt lgkmcnt(0)
	v_pk_add_f32 v[4:5], v[4:5], v[10:11]
	ds_write_b64 v1, v[4:5]
.LBB2_10:
	s_or_b64 exec, exec, s[12:13]
	s_waitcnt lgkmcnt(0)
	s_barrier
	s_and_saveexec_b64 s[12:13], vcc
	s_cbranch_execz .LBB2_21
; %bb.11:
	s_mul_i32 s16, s8, s2
	s_mul_hi_u32 s17, s8, s3
	s_add_i32 s16, s17, s16
	s_mul_i32 s9, s9, s3
	s_add_i32 s9, s16, s9
	s_mul_i32 s8, s8, s3
	s_lshl_b64 s[8:9], s[8:9], 3
	s_add_u32 s8, s4, s8
	s_addc_u32 s9, s5, s9
	s_lshl_b64 s[4:5], s[6:7], 3
	s_add_u32 s16, s8, s4
	s_addc_u32 s17, s9, s5
	v_mov_b32_e32 v5, 0
	s_load_dword s19, s[16:17], 0x4
	ds_read_b32 v6, v5
	s_mul_i32 s2, s22, s2
	s_mul_hi_u32 s4, s22, s3
	s_add_i32 s2, s4, s2
	s_mul_i32 s4, s23, s3
	s_add_i32 s5, s2, s4
	s_mul_i32 s4, s22, s3
	s_lshl_b64 s[2:3], s[4:5], 3
	s_add_u32 s14, s14, s2
	s_waitcnt lgkmcnt(0)
	v_mul_f32_e64 v1, s19, s19
	v_max_f32_e32 v3, v6, v6
	s_addc_u32 s15, s15, s3
	v_max_f32_e32 v3, v3, v1
	s_cmp_lg_u64 s[20:21], 0
	v_cmp_nlt_f32_e32 vcc, 0, v3
	s_mov_b64 s[4:5], 0
	s_cselect_b64 s[2:3], -1, 0
	s_mov_b64 s[6:7], -1
	s_cbranch_vccz .LBB2_14
; %bb.12:
	v_mov_b32_e32 v4, 1.0
	v_mov_b32_e32 v8, v5
	v_mov_b32_e32 v9, v5
	s_mov_b64 s[6:7], 0
	s_and_b64 vcc, exec, s[2:3]
	ds_write_b64 v5, v[4:5]
	global_store_dwordx2 v5, v[8:9], s[14:15]
	s_cbranch_vccz .LBB2_14
; %bb.13:
	v_mov_b32_e32 v3, 0
	global_load_dword v5, v3, s[16:17]
	s_mov_b64 s[4:5], -1
	s_waitcnt vmcnt(0)
	global_store_dword v3, v5, s[20:21]
	global_store_dword v3, v4, s[16:17]
.LBB2_14:
	s_and_b64 vcc, exec, s[6:7]
	s_cbranch_vccz .LBB2_19
; %bb.15:
	v_mov_b32_e32 v3, 0
	global_load_dword v5, v3, s[16:17]
	s_mov_b32 s4, 0xf800000
	v_mov_b32_e32 v7, 0x260
	s_and_b64 s[2:3], exec, s[2:3]
	s_waitcnt vmcnt(0)
	v_fma_f32 v4, v5, v5, v1
	v_add_f32_e32 v4, v6, v4
	v_mul_f32_e32 v6, 0x4f800000, v4
	v_cmp_gt_f32_e32 vcc, s4, v4
	s_nop 1
	v_cndmask_b32_e32 v4, v4, v6, vcc
	v_sqrt_f32_e32 v6, v4
	s_nop 0
	v_add_u32_e32 v8, -1, v6
	v_add_u32_e32 v9, 1, v6
	v_fma_f32 v10, -v8, v6, v4
	v_fma_f32 v11, -v9, v6, v4
	v_cmp_ge_f32_e64 s[4:5], 0, v10
	s_nop 1
	v_cndmask_b32_e64 v6, v6, v8, s[4:5]
	v_cmp_lt_f32_e64 s[4:5], 0, v11
	s_nop 1
	v_cndmask_b32_e64 v6, v6, v9, s[4:5]
	v_mul_f32_e32 v8, 0x37800000, v6
	v_cndmask_b32_e32 v6, v6, v8, vcc
	v_cmp_class_f32_e32 vcc, v4, v7
	s_nop 1
	v_cndmask_b32_e32 v4, v6, v4, vcc
	v_cmp_le_f32_e32 vcc, 0, v5
	s_nop 1
	v_cndmask_b32_e64 v4, v4, -v4, vcc
	v_sub_f32_e32 v6, v5, v4
	v_sub_f32_e32 v5, v4, v5
	v_div_scale_f32 v7, s[4:5], v4, v4, -s19
	v_fmac_f32_e32 v1, v6, v6
	v_div_scale_f32 v9, s[6:7], v4, v4, v5
	v_rcp_f32_e32 v11, v7
	v_div_scale_f32 v12, s[8:9], v1, v1, v6
	v_div_scale_f32 v14, s[8:9], v1, v1, -s19
	v_rcp_f32_e32 v16, v9
	v_rcp_f32_e32 v17, v12
	;; [unrolled: 1-line block ×3, first 2 shown]
	v_fma_f32 v19, -v7, v11, 1.0
	v_div_scale_f32 v8, s[4:5], -s19, v4, -s19
	v_fma_f32 v20, -v9, v16, 1.0
	v_fmac_f32_e32 v11, v19, v11
	v_fma_f32 v19, -v12, v17, 1.0
	v_div_scale_f32 v13, vcc, v6, v1, v6
	v_fma_f32 v21, -v14, v18, 1.0
	v_fmac_f32_e32 v16, v20, v16
	v_mul_f32_e32 v20, v8, v11
	v_fmac_f32_e32 v17, v19, v17
	v_div_scale_f32 v10, s[6:7], v5, v4, v5
	v_div_scale_f32 v15, s[8:9], -s19, v1, -s19
	v_fmac_f32_e32 v18, v21, v18
	v_fma_f32 v21, -v7, v20, v8
	v_mul_f32_e32 v22, v13, v17
	v_mul_f32_e32 v19, v10, v16
	;; [unrolled: 1-line block ×3, first 2 shown]
	v_fmac_f32_e32 v20, v21, v11
	v_fma_f32 v21, -v12, v22, v13
	v_fma_f32 v24, -v9, v19, v10
	;; [unrolled: 1-line block ×3, first 2 shown]
	v_fmac_f32_e32 v22, v21, v17
	v_fmac_f32_e32 v19, v24, v16
	v_fma_f32 v8, -v7, v20, v8
	v_fmac_f32_e32 v23, v25, v18
	v_fma_f32 v7, -v12, v22, v13
	v_fma_f32 v9, -v9, v19, v10
	;; [unrolled: 1-line block ×3, first 2 shown]
	v_div_fmas_f32 v7, v7, v17, v22
	s_mov_b64 vcc, s[8:9]
	v_div_fixup_f32 v6, v7, v1, v6
	v_div_fmas_f32 v7, v10, v18, v23
	s_mov_b64 vcc, s[6:7]
	v_div_fixup_f32 v7, v7, v1, -s19
	v_div_fmas_f32 v1, v9, v16, v19
	s_mov_b64 vcc, s[4:5]
	ds_write_b64 v3, v[6:7]
	v_div_fixup_f32 v6, v1, v4, v5
	v_div_fmas_f32 v1, v8, v11, v20
	v_div_fixup_f32 v7, v1, v4, -s19
	s_mov_b64 vcc, s[2:3]
	global_store_dwordx2 v3, v[6:7], s[14:15]
	s_cbranch_vccz .LBB2_25
; %bb.16:
	v_mov_b32_e32 v1, 1.0
	global_store_dword v3, v4, s[20:21]
	global_store_dword v3, v1, s[16:17]
	s_cbranch_execnz .LBB2_18
.LBB2_17:
	v_mov_b32_e32 v1, 0
	global_store_dword v1, v4, s[16:17]
.LBB2_18:
	s_mov_b64 s[4:5], -1
.LBB2_19:
	s_andn2_b64 vcc, exec, s[4:5]
	s_cbranch_vccnz .LBB2_21
; %bb.20:
	v_mov_b32_e32 v1, 0
	global_store_dword v1, v1, s[16:17] offset:4
.LBB2_21:
	s_or_b64 exec, exec, s[12:13]
	s_waitcnt lgkmcnt(0)
	s_barrier
	s_and_saveexec_b64 s[2:3], s[0:1]
	s_cbranch_execz .LBB2_24
; %bb.22:
	v_mov_b32_e32 v1, 0
	ds_read_b64 v[4:5], v1
	s_lshl_b32 s2, s24, 8
	s_mov_b64 s[0:1], 0
	s_waitcnt lgkmcnt(0)
	v_mov_b32_e32 v6, v5
	v_mov_b32_e32 v7, v4
.LBB2_23:                               ; =>This Inner Loop Header: Depth=1
	v_ashrrev_i32_e32 v3, 31, v2
	v_lshl_add_u64 v[8:9], v[2:3], 3, s[10:11]
	global_load_dwordx2 v[10:11], v[8:9], off
	v_add_u32_e32 v0, 0x100, v0
	v_cmp_le_i32_e32 vcc, s18, v0
	s_or_b64 s[0:1], vcc, s[0:1]
	v_add_u32_e32 v2, s2, v2
	s_waitcnt vmcnt(0)
	v_pk_mul_f32 v[12:13], v[6:7], v[10:11] op_sel:[0,1]
	s_nop 0
	v_pk_fma_f32 v[14:15], v[4:5], v[10:11], v[12:13] neg_lo:[0,0,1] neg_hi:[0,0,1]
	v_pk_fma_f32 v[10:11], v[4:5], v[10:11], v[12:13] op_sel_hi:[1,0,1]
	s_nop 0
	v_mov_b32_e32 v15, v11
	global_store_dwordx2 v[8:9], v[14:15], off
	s_andn2_b64 exec, exec, s[0:1]
	s_cbranch_execnz .LBB2_23
.LBB2_24:
	s_endpgm
.LBB2_25:
	s_branch .LBB2_17
	.section	.rodata,"a",@progbits
	.p2align	6, 0x0
	.amdhsa_kernel _ZN9rocsolver6v33100L18larfg_kernel_smallILi256E19rocblas_complex_numIfEifPS3_EEvT1_T3_llPT2_llS6_lS5_lPT0_l
		.amdhsa_group_segment_fixed_size 32
		.amdhsa_private_segment_fixed_size 0
		.amdhsa_kernarg_size 104
		.amdhsa_user_sgpr_count 2
		.amdhsa_user_sgpr_dispatch_ptr 0
		.amdhsa_user_sgpr_queue_ptr 0
		.amdhsa_user_sgpr_kernarg_segment_ptr 1
		.amdhsa_user_sgpr_dispatch_id 0
		.amdhsa_user_sgpr_kernarg_preload_length 0
		.amdhsa_user_sgpr_kernarg_preload_offset 0
		.amdhsa_user_sgpr_private_segment_size 0
		.amdhsa_uses_dynamic_stack 0
		.amdhsa_enable_private_segment 0
		.amdhsa_system_sgpr_workgroup_id_x 1
		.amdhsa_system_sgpr_workgroup_id_y 0
		.amdhsa_system_sgpr_workgroup_id_z 1
		.amdhsa_system_sgpr_workgroup_info 0
		.amdhsa_system_vgpr_workitem_id 0
		.amdhsa_next_free_vgpr 26
		.amdhsa_next_free_sgpr 26
		.amdhsa_accum_offset 28
		.amdhsa_reserve_vcc 1
		.amdhsa_float_round_mode_32 0
		.amdhsa_float_round_mode_16_64 0
		.amdhsa_float_denorm_mode_32 3
		.amdhsa_float_denorm_mode_16_64 3
		.amdhsa_dx10_clamp 1
		.amdhsa_ieee_mode 1
		.amdhsa_fp16_overflow 0
		.amdhsa_tg_split 0
		.amdhsa_exception_fp_ieee_invalid_op 0
		.amdhsa_exception_fp_denorm_src 0
		.amdhsa_exception_fp_ieee_div_zero 0
		.amdhsa_exception_fp_ieee_overflow 0
		.amdhsa_exception_fp_ieee_underflow 0
		.amdhsa_exception_fp_ieee_inexact 0
		.amdhsa_exception_int_div_zero 0
	.end_amdhsa_kernel
	.section	.text._ZN9rocsolver6v33100L18larfg_kernel_smallILi256E19rocblas_complex_numIfEifPS3_EEvT1_T3_llPT2_llS6_lS5_lPT0_l,"axG",@progbits,_ZN9rocsolver6v33100L18larfg_kernel_smallILi256E19rocblas_complex_numIfEifPS3_EEvT1_T3_llPT2_llS6_lS5_lPT0_l,comdat
.Lfunc_end2:
	.size	_ZN9rocsolver6v33100L18larfg_kernel_smallILi256E19rocblas_complex_numIfEifPS3_EEvT1_T3_llPT2_llS6_lS5_lPT0_l, .Lfunc_end2-_ZN9rocsolver6v33100L18larfg_kernel_smallILi256E19rocblas_complex_numIfEifPS3_EEvT1_T3_llPT2_llS6_lS5_lPT0_l
                                        ; -- End function
	.set _ZN9rocsolver6v33100L18larfg_kernel_smallILi256E19rocblas_complex_numIfEifPS3_EEvT1_T3_llPT2_llS6_lS5_lPT0_l.num_vgpr, 26
	.set _ZN9rocsolver6v33100L18larfg_kernel_smallILi256E19rocblas_complex_numIfEifPS3_EEvT1_T3_llPT2_llS6_lS5_lPT0_l.num_agpr, 0
	.set _ZN9rocsolver6v33100L18larfg_kernel_smallILi256E19rocblas_complex_numIfEifPS3_EEvT1_T3_llPT2_llS6_lS5_lPT0_l.numbered_sgpr, 26
	.set _ZN9rocsolver6v33100L18larfg_kernel_smallILi256E19rocblas_complex_numIfEifPS3_EEvT1_T3_llPT2_llS6_lS5_lPT0_l.num_named_barrier, 0
	.set _ZN9rocsolver6v33100L18larfg_kernel_smallILi256E19rocblas_complex_numIfEifPS3_EEvT1_T3_llPT2_llS6_lS5_lPT0_l.private_seg_size, 0
	.set _ZN9rocsolver6v33100L18larfg_kernel_smallILi256E19rocblas_complex_numIfEifPS3_EEvT1_T3_llPT2_llS6_lS5_lPT0_l.uses_vcc, 1
	.set _ZN9rocsolver6v33100L18larfg_kernel_smallILi256E19rocblas_complex_numIfEifPS3_EEvT1_T3_llPT2_llS6_lS5_lPT0_l.uses_flat_scratch, 0
	.set _ZN9rocsolver6v33100L18larfg_kernel_smallILi256E19rocblas_complex_numIfEifPS3_EEvT1_T3_llPT2_llS6_lS5_lPT0_l.has_dyn_sized_stack, 0
	.set _ZN9rocsolver6v33100L18larfg_kernel_smallILi256E19rocblas_complex_numIfEifPS3_EEvT1_T3_llPT2_llS6_lS5_lPT0_l.has_recursion, 0
	.set _ZN9rocsolver6v33100L18larfg_kernel_smallILi256E19rocblas_complex_numIfEifPS3_EEvT1_T3_llPT2_llS6_lS5_lPT0_l.has_indirect_call, 0
	.section	.AMDGPU.csdata,"",@progbits
; Kernel info:
; codeLenInByte = 1716
; TotalNumSgprs: 32
; NumVgprs: 26
; NumAgprs: 0
; TotalNumVgprs: 26
; ScratchSize: 0
; MemoryBound: 0
; FloatMode: 240
; IeeeMode: 1
; LDSByteSize: 32 bytes/workgroup (compile time only)
; SGPRBlocks: 3
; VGPRBlocks: 3
; NumSGPRsForWavesPerEU: 32
; NumVGPRsForWavesPerEU: 26
; AccumOffset: 28
; Occupancy: 8
; WaveLimiterHint : 1
; COMPUTE_PGM_RSRC2:SCRATCH_EN: 0
; COMPUTE_PGM_RSRC2:USER_SGPR: 2
; COMPUTE_PGM_RSRC2:TRAP_HANDLER: 0
; COMPUTE_PGM_RSRC2:TGID_X_EN: 1
; COMPUTE_PGM_RSRC2:TGID_Y_EN: 0
; COMPUTE_PGM_RSRC2:TGID_Z_EN: 1
; COMPUTE_PGM_RSRC2:TIDIG_COMP_CNT: 0
; COMPUTE_PGM_RSRC3_GFX90A:ACCUM_OFFSET: 6
; COMPUTE_PGM_RSRC3_GFX90A:TG_SPLIT: 0
	.section	.text._ZN9rocsolver6v33100L18larfg_kernel_smallILi512E19rocblas_complex_numIfEifPS3_EEvT1_T3_llPT2_llS6_lS5_lPT0_l,"axG",@progbits,_ZN9rocsolver6v33100L18larfg_kernel_smallILi512E19rocblas_complex_numIfEifPS3_EEvT1_T3_llPT2_llS6_lS5_lPT0_l,comdat
	.globl	_ZN9rocsolver6v33100L18larfg_kernel_smallILi512E19rocblas_complex_numIfEifPS3_EEvT1_T3_llPT2_llS6_lS5_lPT0_l ; -- Begin function _ZN9rocsolver6v33100L18larfg_kernel_smallILi512E19rocblas_complex_numIfEifPS3_EEvT1_T3_llPT2_llS6_lS5_lPT0_l
	.p2align	8
	.type	_ZN9rocsolver6v33100L18larfg_kernel_smallILi512E19rocblas_complex_numIfEifPS3_EEvT1_T3_llPT2_llS6_lS5_lPT0_l,@function
_ZN9rocsolver6v33100L18larfg_kernel_smallILi512E19rocblas_complex_numIfEifPS3_EEvT1_T3_llPT2_llS6_lS5_lPT0_l: ; @_ZN9rocsolver6v33100L18larfg_kernel_smallILi512E19rocblas_complex_numIfEifPS3_EEvT1_T3_llPT2_llS6_lS5_lPT0_l
; %bb.0:
	s_load_dwordx16 s[4:19], s[0:1], 0x8
	s_ashr_i32 s2, s3, 31
	s_mov_b64 s[20:21], 0
	s_waitcnt lgkmcnt(0)
	s_cmp_eq_u64 s[10:11], 0
	s_cbranch_scc1 .LBB3_2
; %bb.1:
	s_mul_i32 s20, s14, s2
	s_mul_hi_u32 s21, s14, s3
	s_add_i32 s20, s21, s20
	s_mul_i32 s15, s15, s3
	s_add_i32 s15, s20, s15
	s_mul_i32 s14, s14, s3
	s_lshl_b64 s[14:15], s[14:15], 2
	s_add_u32 s14, s10, s14
	s_addc_u32 s15, s11, s15
	s_lshl_b64 s[10:11], s[12:13], 2
	s_add_u32 s20, s14, s10
	s_addc_u32 s21, s15, s11
.LBB3_2:
	s_load_dwordx4 s[12:15], s[0:1], 0x50
	s_load_dword s25, s[0:1], 0x0
	s_load_dword s24, s[0:1], 0x48
	s_load_dwordx2 s[22:23], s[0:1], 0x60
	v_mov_b32_e32 v5, 0
	s_waitcnt lgkmcnt(0)
	s_mul_i32 s0, s12, s2
	s_mul_hi_u32 s1, s12, s3
	s_add_i32 s0, s1, s0
	s_mul_i32 s1, s13, s3
	s_add_i32 s1, s0, s1
	s_mul_i32 s0, s12, s3
	s_lshl_b64 s[0:1], s[0:1], 3
	s_add_u32 s10, s16, s0
	s_addc_u32 s11, s17, s1
	s_lshl_b64 s[0:1], s[18:19], 3
	s_add_u32 s10, s10, s0
	s_addc_u32 s11, s11, s1
	s_add_i32 s18, s25, -1
	v_cmp_gt_i32_e64 s[0:1], s18, v0
	v_mul_lo_u32 v2, v0, s24
	v_mov_b32_e32 v4, v5
	s_and_saveexec_b64 s[12:13], s[0:1]
	s_cbranch_execz .LBB3_6
; %bb.3:
	v_mov_b32_e32 v4, 0
	v_mul_lo_u32 v6, v0, s24
	s_lshl_b32 s19, s24, 9
	s_mov_b64 s[16:17], 0
	v_mov_b32_e32 v1, v0
	v_mov_b32_e32 v5, v4
.LBB3_4:                                ; =>This Inner Loop Header: Depth=1
	v_ashrrev_i32_e32 v7, 31, v6
	v_lshl_add_u64 v[8:9], v[6:7], 3, s[10:11]
	global_load_dwordx2 v[8:9], v[8:9], off
	v_add_u32_e32 v1, 0x200, v1
	v_cmp_le_i32_e32 vcc, s18, v1
	s_or_b64 s[16:17], vcc, s[16:17]
	v_add_u32_e32 v6, s19, v6
	s_waitcnt vmcnt(0)
	v_pk_mul_f32 v[10:11], v[8:9], v[8:9] op_sel:[1,1] op_sel_hi:[0,1]
	v_pk_fma_f32 v[12:13], v[8:9], v[8:9], v[10:11]
	v_pk_fma_f32 v[8:9], v[8:9], v[8:9], v[10:11] op_sel_hi:[0,1,1] neg_lo:[0,0,1] neg_hi:[0,0,1]
	v_mov_b32_e32 v13, v9
	v_pk_add_f32 v[4:5], v[4:5], v[12:13]
	s_andn2_b64 exec, exec, s[16:17]
	s_cbranch_execnz .LBB3_4
; %bb.5:
	s_or_b64 exec, exec, s[16:17]
.LBB3_6:
	s_or_b64 exec, exec, s[12:13]
	v_mbcnt_lo_u32_b32 v1, -1, 0
	v_mbcnt_hi_u32_b32 v1, -1, v1
	v_and_b32_e32 v3, 63, v1
	v_cmp_ne_u32_e32 vcc, 63, v3
	s_nop 1
	v_addc_co_u32_e32 v6, vcc, 0, v1, vcc
	v_lshlrev_b32_e32 v7, 2, v6
	ds_bpermute_b32 v6, v7, v4
	ds_bpermute_b32 v7, v7, v5
	v_cmp_gt_u32_e32 vcc, 62, v3
	s_waitcnt lgkmcnt(0)
	v_pk_add_f32 v[4:5], v[4:5], v[6:7]
	v_cndmask_b32_e64 v8, 0, 2, vcc
	v_add_lshl_u32 v8, v8, v1, 2
	ds_bpermute_b32 v6, v8, v4
	ds_bpermute_b32 v7, v8, v5
	v_cmp_gt_u32_e32 vcc, 60, v3
	s_waitcnt lgkmcnt(0)
	v_pk_add_f32 v[4:5], v[4:5], v[6:7]
	v_cndmask_b32_e64 v6, 0, 4, vcc
	v_add_lshl_u32 v7, v6, v1, 2
	ds_bpermute_b32 v6, v7, v4
	ds_bpermute_b32 v7, v7, v5
	v_cmp_gt_u32_e32 vcc, 56, v3
	s_waitcnt lgkmcnt(0)
	v_pk_add_f32 v[4:5], v[4:5], v[6:7]
	v_cndmask_b32_e64 v8, 0, 8, vcc
	v_add_lshl_u32 v8, v8, v1, 2
	ds_bpermute_b32 v6, v8, v4
	ds_bpermute_b32 v7, v8, v5
	v_cmp_gt_u32_e32 vcc, 48, v3
	s_waitcnt lgkmcnt(0)
	v_pk_add_f32 v[4:5], v[4:5], v[6:7]
	v_cndmask_b32_e64 v3, 0, 16, vcc
	v_add_lshl_u32 v3, v3, v1, 2
	ds_bpermute_b32 v6, v3, v4
	ds_bpermute_b32 v7, v3, v5
	v_mov_b32_e32 v3, 0x80
	v_lshl_or_b32 v1, v1, 2, v3
	s_waitcnt lgkmcnt(0)
	v_pk_add_f32 v[4:5], v[4:5], v[6:7]
	ds_bpermute_b32 v6, v1, v4
	ds_bpermute_b32 v7, v1, v5
	v_and_b32_e32 v1, 63, v0
	v_cmp_eq_u32_e32 vcc, 0, v1
	s_waitcnt lgkmcnt(0)
	v_pk_add_f32 v[4:5], v[4:5], v[6:7]
	s_and_saveexec_b64 s[12:13], vcc
; %bb.7:
	v_lshrrev_b32_e32 v1, 3, v0
	ds_write_b64 v1, v[4:5]
; %bb.8:
	s_or_b64 exec, exec, s[12:13]
	v_cmp_eq_u32_e32 vcc, 0, v0
	s_waitcnt lgkmcnt(0)
	s_barrier
	s_and_saveexec_b64 s[12:13], vcc
	s_cbranch_execz .LBB3_10
; %bb.9:
	v_mov_b32_e32 v1, 0
	ds_read2_b64 v[6:9], v1 offset0:1 offset1:2
	ds_read2_b64 v[10:13], v1 offset0:3 offset1:4
	;; [unrolled: 1-line block ×3, first 2 shown]
	s_waitcnt lgkmcnt(2)
	v_pk_add_f32 v[4:5], v[4:5], v[6:7]
	s_nop 0
	v_pk_add_f32 v[4:5], v[4:5], v[8:9]
	ds_read_b64 v[6:7], v1 offset:56
	s_waitcnt lgkmcnt(2)
	v_pk_add_f32 v[4:5], v[4:5], v[10:11]
	s_nop 0
	v_pk_add_f32 v[4:5], v[4:5], v[12:13]
	s_waitcnt lgkmcnt(1)
	v_pk_add_f32 v[4:5], v[4:5], v[14:15]
	s_nop 0
	v_pk_add_f32 v[4:5], v[4:5], v[16:17]
	s_waitcnt lgkmcnt(0)
	v_pk_add_f32 v[4:5], v[4:5], v[6:7]
	ds_write_b64 v1, v[4:5]
.LBB3_10:
	s_or_b64 exec, exec, s[12:13]
	s_waitcnt lgkmcnt(0)
	s_barrier
	s_and_saveexec_b64 s[12:13], vcc
	s_cbranch_execz .LBB3_21
; %bb.11:
	s_mul_i32 s16, s8, s2
	s_mul_hi_u32 s17, s8, s3
	s_add_i32 s16, s17, s16
	s_mul_i32 s9, s9, s3
	s_add_i32 s9, s16, s9
	s_mul_i32 s8, s8, s3
	s_lshl_b64 s[8:9], s[8:9], 3
	s_add_u32 s8, s4, s8
	s_addc_u32 s9, s5, s9
	s_lshl_b64 s[4:5], s[6:7], 3
	s_add_u32 s16, s8, s4
	s_addc_u32 s17, s9, s5
	v_mov_b32_e32 v5, 0
	s_load_dword s19, s[16:17], 0x4
	ds_read_b32 v6, v5
	s_mul_i32 s2, s22, s2
	s_mul_hi_u32 s4, s22, s3
	s_add_i32 s2, s4, s2
	s_mul_i32 s4, s23, s3
	s_add_i32 s5, s2, s4
	s_mul_i32 s4, s22, s3
	s_lshl_b64 s[2:3], s[4:5], 3
	s_add_u32 s14, s14, s2
	s_waitcnt lgkmcnt(0)
	v_mul_f32_e64 v1, s19, s19
	v_max_f32_e32 v3, v6, v6
	s_addc_u32 s15, s15, s3
	v_max_f32_e32 v3, v3, v1
	s_cmp_lg_u64 s[20:21], 0
	v_cmp_nlt_f32_e32 vcc, 0, v3
	s_mov_b64 s[4:5], 0
	s_cselect_b64 s[2:3], -1, 0
	s_mov_b64 s[6:7], -1
	s_cbranch_vccz .LBB3_14
; %bb.12:
	v_mov_b32_e32 v4, 1.0
	v_mov_b32_e32 v8, v5
	v_mov_b32_e32 v9, v5
	s_mov_b64 s[6:7], 0
	s_and_b64 vcc, exec, s[2:3]
	ds_write_b64 v5, v[4:5]
	global_store_dwordx2 v5, v[8:9], s[14:15]
	s_cbranch_vccz .LBB3_14
; %bb.13:
	v_mov_b32_e32 v3, 0
	global_load_dword v5, v3, s[16:17]
	s_mov_b64 s[4:5], -1
	s_waitcnt vmcnt(0)
	global_store_dword v3, v5, s[20:21]
	global_store_dword v3, v4, s[16:17]
.LBB3_14:
	s_and_b64 vcc, exec, s[6:7]
	s_cbranch_vccz .LBB3_19
; %bb.15:
	v_mov_b32_e32 v3, 0
	global_load_dword v5, v3, s[16:17]
	s_mov_b32 s4, 0xf800000
	v_mov_b32_e32 v7, 0x260
	s_and_b64 s[2:3], exec, s[2:3]
	s_waitcnt vmcnt(0)
	v_fma_f32 v4, v5, v5, v1
	v_add_f32_e32 v4, v6, v4
	v_mul_f32_e32 v6, 0x4f800000, v4
	v_cmp_gt_f32_e32 vcc, s4, v4
	s_nop 1
	v_cndmask_b32_e32 v4, v4, v6, vcc
	v_sqrt_f32_e32 v6, v4
	s_nop 0
	v_add_u32_e32 v8, -1, v6
	v_add_u32_e32 v9, 1, v6
	v_fma_f32 v10, -v8, v6, v4
	v_fma_f32 v11, -v9, v6, v4
	v_cmp_ge_f32_e64 s[4:5], 0, v10
	s_nop 1
	v_cndmask_b32_e64 v6, v6, v8, s[4:5]
	v_cmp_lt_f32_e64 s[4:5], 0, v11
	s_nop 1
	v_cndmask_b32_e64 v6, v6, v9, s[4:5]
	v_mul_f32_e32 v8, 0x37800000, v6
	v_cndmask_b32_e32 v6, v6, v8, vcc
	v_cmp_class_f32_e32 vcc, v4, v7
	s_nop 1
	v_cndmask_b32_e32 v4, v6, v4, vcc
	v_cmp_le_f32_e32 vcc, 0, v5
	s_nop 1
	v_cndmask_b32_e64 v4, v4, -v4, vcc
	v_sub_f32_e32 v6, v5, v4
	v_sub_f32_e32 v5, v4, v5
	v_div_scale_f32 v7, s[4:5], v4, v4, -s19
	v_fmac_f32_e32 v1, v6, v6
	v_div_scale_f32 v9, s[6:7], v4, v4, v5
	v_rcp_f32_e32 v11, v7
	v_div_scale_f32 v12, s[8:9], v1, v1, v6
	v_div_scale_f32 v14, s[8:9], v1, v1, -s19
	v_rcp_f32_e32 v16, v9
	v_rcp_f32_e32 v17, v12
	;; [unrolled: 1-line block ×3, first 2 shown]
	v_fma_f32 v19, -v7, v11, 1.0
	v_div_scale_f32 v8, s[4:5], -s19, v4, -s19
	v_fma_f32 v20, -v9, v16, 1.0
	v_fmac_f32_e32 v11, v19, v11
	v_fma_f32 v19, -v12, v17, 1.0
	v_div_scale_f32 v13, vcc, v6, v1, v6
	v_fma_f32 v21, -v14, v18, 1.0
	v_fmac_f32_e32 v16, v20, v16
	v_mul_f32_e32 v20, v8, v11
	v_fmac_f32_e32 v17, v19, v17
	v_div_scale_f32 v10, s[6:7], v5, v4, v5
	v_div_scale_f32 v15, s[8:9], -s19, v1, -s19
	v_fmac_f32_e32 v18, v21, v18
	v_fma_f32 v21, -v7, v20, v8
	v_mul_f32_e32 v22, v13, v17
	v_mul_f32_e32 v19, v10, v16
	;; [unrolled: 1-line block ×3, first 2 shown]
	v_fmac_f32_e32 v20, v21, v11
	v_fma_f32 v21, -v12, v22, v13
	v_fma_f32 v24, -v9, v19, v10
	;; [unrolled: 1-line block ×3, first 2 shown]
	v_fmac_f32_e32 v22, v21, v17
	v_fmac_f32_e32 v19, v24, v16
	v_fma_f32 v8, -v7, v20, v8
	v_fmac_f32_e32 v23, v25, v18
	v_fma_f32 v7, -v12, v22, v13
	v_fma_f32 v9, -v9, v19, v10
	;; [unrolled: 1-line block ×3, first 2 shown]
	v_div_fmas_f32 v7, v7, v17, v22
	s_mov_b64 vcc, s[8:9]
	v_div_fixup_f32 v6, v7, v1, v6
	v_div_fmas_f32 v7, v10, v18, v23
	s_mov_b64 vcc, s[6:7]
	v_div_fixup_f32 v7, v7, v1, -s19
	v_div_fmas_f32 v1, v9, v16, v19
	s_mov_b64 vcc, s[4:5]
	ds_write_b64 v3, v[6:7]
	v_div_fixup_f32 v6, v1, v4, v5
	v_div_fmas_f32 v1, v8, v11, v20
	v_div_fixup_f32 v7, v1, v4, -s19
	s_mov_b64 vcc, s[2:3]
	global_store_dwordx2 v3, v[6:7], s[14:15]
	s_cbranch_vccz .LBB3_25
; %bb.16:
	v_mov_b32_e32 v1, 1.0
	global_store_dword v3, v4, s[20:21]
	global_store_dword v3, v1, s[16:17]
	s_cbranch_execnz .LBB3_18
.LBB3_17:
	v_mov_b32_e32 v1, 0
	global_store_dword v1, v4, s[16:17]
.LBB3_18:
	s_mov_b64 s[4:5], -1
.LBB3_19:
	s_andn2_b64 vcc, exec, s[4:5]
	s_cbranch_vccnz .LBB3_21
; %bb.20:
	v_mov_b32_e32 v1, 0
	global_store_dword v1, v1, s[16:17] offset:4
.LBB3_21:
	s_or_b64 exec, exec, s[12:13]
	s_waitcnt lgkmcnt(0)
	s_barrier
	s_and_saveexec_b64 s[2:3], s[0:1]
	s_cbranch_execz .LBB3_24
; %bb.22:
	v_mov_b32_e32 v1, 0
	ds_read_b64 v[4:5], v1
	s_lshl_b32 s2, s24, 9
	s_mov_b64 s[0:1], 0
	s_waitcnt lgkmcnt(0)
	v_mov_b32_e32 v6, v5
	v_mov_b32_e32 v7, v4
.LBB3_23:                               ; =>This Inner Loop Header: Depth=1
	v_ashrrev_i32_e32 v3, 31, v2
	v_lshl_add_u64 v[8:9], v[2:3], 3, s[10:11]
	global_load_dwordx2 v[10:11], v[8:9], off
	v_add_u32_e32 v0, 0x200, v0
	v_cmp_le_i32_e32 vcc, s18, v0
	s_or_b64 s[0:1], vcc, s[0:1]
	v_add_u32_e32 v2, s2, v2
	s_waitcnt vmcnt(0)
	v_pk_mul_f32 v[12:13], v[6:7], v[10:11] op_sel:[0,1]
	s_nop 0
	v_pk_fma_f32 v[14:15], v[4:5], v[10:11], v[12:13] neg_lo:[0,0,1] neg_hi:[0,0,1]
	v_pk_fma_f32 v[10:11], v[4:5], v[10:11], v[12:13] op_sel_hi:[1,0,1]
	s_nop 0
	v_mov_b32_e32 v15, v11
	global_store_dwordx2 v[8:9], v[14:15], off
	s_andn2_b64 exec, exec, s[0:1]
	s_cbranch_execnz .LBB3_23
.LBB3_24:
	s_endpgm
.LBB3_25:
	s_branch .LBB3_17
	.section	.rodata,"a",@progbits
	.p2align	6, 0x0
	.amdhsa_kernel _ZN9rocsolver6v33100L18larfg_kernel_smallILi512E19rocblas_complex_numIfEifPS3_EEvT1_T3_llPT2_llS6_lS5_lPT0_l
		.amdhsa_group_segment_fixed_size 64
		.amdhsa_private_segment_fixed_size 0
		.amdhsa_kernarg_size 104
		.amdhsa_user_sgpr_count 2
		.amdhsa_user_sgpr_dispatch_ptr 0
		.amdhsa_user_sgpr_queue_ptr 0
		.amdhsa_user_sgpr_kernarg_segment_ptr 1
		.amdhsa_user_sgpr_dispatch_id 0
		.amdhsa_user_sgpr_kernarg_preload_length 0
		.amdhsa_user_sgpr_kernarg_preload_offset 0
		.amdhsa_user_sgpr_private_segment_size 0
		.amdhsa_uses_dynamic_stack 0
		.amdhsa_enable_private_segment 0
		.amdhsa_system_sgpr_workgroup_id_x 1
		.amdhsa_system_sgpr_workgroup_id_y 0
		.amdhsa_system_sgpr_workgroup_id_z 1
		.amdhsa_system_sgpr_workgroup_info 0
		.amdhsa_system_vgpr_workitem_id 0
		.amdhsa_next_free_vgpr 26
		.amdhsa_next_free_sgpr 26
		.amdhsa_accum_offset 28
		.amdhsa_reserve_vcc 1
		.amdhsa_float_round_mode_32 0
		.amdhsa_float_round_mode_16_64 0
		.amdhsa_float_denorm_mode_32 3
		.amdhsa_float_denorm_mode_16_64 3
		.amdhsa_dx10_clamp 1
		.amdhsa_ieee_mode 1
		.amdhsa_fp16_overflow 0
		.amdhsa_tg_split 0
		.amdhsa_exception_fp_ieee_invalid_op 0
		.amdhsa_exception_fp_denorm_src 0
		.amdhsa_exception_fp_ieee_div_zero 0
		.amdhsa_exception_fp_ieee_overflow 0
		.amdhsa_exception_fp_ieee_underflow 0
		.amdhsa_exception_fp_ieee_inexact 0
		.amdhsa_exception_int_div_zero 0
	.end_amdhsa_kernel
	.section	.text._ZN9rocsolver6v33100L18larfg_kernel_smallILi512E19rocblas_complex_numIfEifPS3_EEvT1_T3_llPT2_llS6_lS5_lPT0_l,"axG",@progbits,_ZN9rocsolver6v33100L18larfg_kernel_smallILi512E19rocblas_complex_numIfEifPS3_EEvT1_T3_llPT2_llS6_lS5_lPT0_l,comdat
.Lfunc_end3:
	.size	_ZN9rocsolver6v33100L18larfg_kernel_smallILi512E19rocblas_complex_numIfEifPS3_EEvT1_T3_llPT2_llS6_lS5_lPT0_l, .Lfunc_end3-_ZN9rocsolver6v33100L18larfg_kernel_smallILi512E19rocblas_complex_numIfEifPS3_EEvT1_T3_llPT2_llS6_lS5_lPT0_l
                                        ; -- End function
	.set _ZN9rocsolver6v33100L18larfg_kernel_smallILi512E19rocblas_complex_numIfEifPS3_EEvT1_T3_llPT2_llS6_lS5_lPT0_l.num_vgpr, 26
	.set _ZN9rocsolver6v33100L18larfg_kernel_smallILi512E19rocblas_complex_numIfEifPS3_EEvT1_T3_llPT2_llS6_lS5_lPT0_l.num_agpr, 0
	.set _ZN9rocsolver6v33100L18larfg_kernel_smallILi512E19rocblas_complex_numIfEifPS3_EEvT1_T3_llPT2_llS6_lS5_lPT0_l.numbered_sgpr, 26
	.set _ZN9rocsolver6v33100L18larfg_kernel_smallILi512E19rocblas_complex_numIfEifPS3_EEvT1_T3_llPT2_llS6_lS5_lPT0_l.num_named_barrier, 0
	.set _ZN9rocsolver6v33100L18larfg_kernel_smallILi512E19rocblas_complex_numIfEifPS3_EEvT1_T3_llPT2_llS6_lS5_lPT0_l.private_seg_size, 0
	.set _ZN9rocsolver6v33100L18larfg_kernel_smallILi512E19rocblas_complex_numIfEifPS3_EEvT1_T3_llPT2_llS6_lS5_lPT0_l.uses_vcc, 1
	.set _ZN9rocsolver6v33100L18larfg_kernel_smallILi512E19rocblas_complex_numIfEifPS3_EEvT1_T3_llPT2_llS6_lS5_lPT0_l.uses_flat_scratch, 0
	.set _ZN9rocsolver6v33100L18larfg_kernel_smallILi512E19rocblas_complex_numIfEifPS3_EEvT1_T3_llPT2_llS6_lS5_lPT0_l.has_dyn_sized_stack, 0
	.set _ZN9rocsolver6v33100L18larfg_kernel_smallILi512E19rocblas_complex_numIfEifPS3_EEvT1_T3_llPT2_llS6_lS5_lPT0_l.has_recursion, 0
	.set _ZN9rocsolver6v33100L18larfg_kernel_smallILi512E19rocblas_complex_numIfEifPS3_EEvT1_T3_llPT2_llS6_lS5_lPT0_l.has_indirect_call, 0
	.section	.AMDGPU.csdata,"",@progbits
; Kernel info:
; codeLenInByte = 1780
; TotalNumSgprs: 32
; NumVgprs: 26
; NumAgprs: 0
; TotalNumVgprs: 26
; ScratchSize: 0
; MemoryBound: 0
; FloatMode: 240
; IeeeMode: 1
; LDSByteSize: 64 bytes/workgroup (compile time only)
; SGPRBlocks: 3
; VGPRBlocks: 3
; NumSGPRsForWavesPerEU: 32
; NumVGPRsForWavesPerEU: 26
; AccumOffset: 28
; Occupancy: 8
; WaveLimiterHint : 1
; COMPUTE_PGM_RSRC2:SCRATCH_EN: 0
; COMPUTE_PGM_RSRC2:USER_SGPR: 2
; COMPUTE_PGM_RSRC2:TRAP_HANDLER: 0
; COMPUTE_PGM_RSRC2:TGID_X_EN: 1
; COMPUTE_PGM_RSRC2:TGID_Y_EN: 0
; COMPUTE_PGM_RSRC2:TGID_Z_EN: 1
; COMPUTE_PGM_RSRC2:TIDIG_COMP_CNT: 0
; COMPUTE_PGM_RSRC3_GFX90A:ACCUM_OFFSET: 6
; COMPUTE_PGM_RSRC3_GFX90A:TG_SPLIT: 0
	.section	.text._ZN9rocsolver6v33100L18larfg_kernel_smallILi1024E19rocblas_complex_numIfEifPS3_EEvT1_T3_llPT2_llS6_lS5_lPT0_l,"axG",@progbits,_ZN9rocsolver6v33100L18larfg_kernel_smallILi1024E19rocblas_complex_numIfEifPS3_EEvT1_T3_llPT2_llS6_lS5_lPT0_l,comdat
	.globl	_ZN9rocsolver6v33100L18larfg_kernel_smallILi1024E19rocblas_complex_numIfEifPS3_EEvT1_T3_llPT2_llS6_lS5_lPT0_l ; -- Begin function _ZN9rocsolver6v33100L18larfg_kernel_smallILi1024E19rocblas_complex_numIfEifPS3_EEvT1_T3_llPT2_llS6_lS5_lPT0_l
	.p2align	8
	.type	_ZN9rocsolver6v33100L18larfg_kernel_smallILi1024E19rocblas_complex_numIfEifPS3_EEvT1_T3_llPT2_llS6_lS5_lPT0_l,@function
_ZN9rocsolver6v33100L18larfg_kernel_smallILi1024E19rocblas_complex_numIfEifPS3_EEvT1_T3_llPT2_llS6_lS5_lPT0_l: ; @_ZN9rocsolver6v33100L18larfg_kernel_smallILi1024E19rocblas_complex_numIfEifPS3_EEvT1_T3_llPT2_llS6_lS5_lPT0_l
; %bb.0:
	s_load_dwordx16 s[4:19], s[0:1], 0x8
	s_ashr_i32 s2, s3, 31
	s_mov_b64 s[20:21], 0
	s_waitcnt lgkmcnt(0)
	s_cmp_eq_u64 s[10:11], 0
	s_cbranch_scc1 .LBB4_2
; %bb.1:
	s_mul_i32 s20, s14, s2
	s_mul_hi_u32 s21, s14, s3
	s_add_i32 s20, s21, s20
	s_mul_i32 s15, s15, s3
	s_add_i32 s15, s20, s15
	s_mul_i32 s14, s14, s3
	s_lshl_b64 s[14:15], s[14:15], 2
	s_add_u32 s14, s10, s14
	s_addc_u32 s15, s11, s15
	s_lshl_b64 s[10:11], s[12:13], 2
	s_add_u32 s20, s14, s10
	s_addc_u32 s21, s15, s11
.LBB4_2:
	s_load_dwordx4 s[12:15], s[0:1], 0x50
	s_load_dword s25, s[0:1], 0x0
	s_load_dword s24, s[0:1], 0x48
	s_load_dwordx2 s[22:23], s[0:1], 0x60
	v_mov_b32_e32 v7, 0
	s_waitcnt lgkmcnt(0)
	s_mul_i32 s0, s12, s2
	s_mul_hi_u32 s1, s12, s3
	s_add_i32 s0, s1, s0
	s_mul_i32 s1, s13, s3
	s_add_i32 s1, s0, s1
	s_mul_i32 s0, s12, s3
	s_lshl_b64 s[0:1], s[0:1], 3
	s_add_u32 s10, s16, s0
	s_addc_u32 s11, s17, s1
	s_lshl_b64 s[0:1], s[18:19], 3
	s_add_u32 s10, s10, s0
	s_addc_u32 s11, s11, s1
	s_add_i32 s18, s25, -1
	v_cmp_gt_i32_e64 s[0:1], s18, v0
	v_mul_lo_u32 v2, v0, s24
	v_mov_b32_e32 v6, 0
	s_and_saveexec_b64 s[12:13], s[0:1]
	s_cbranch_execz .LBB4_6
; %bb.3:
	v_mov_b32_e32 v4, 0
	v_mul_lo_u32 v6, v0, s24
	s_lshl_b32 s19, s24, 10
	s_mov_b64 s[16:17], 0
	v_mov_b32_e32 v1, v0
	v_mov_b32_e32 v5, v4
.LBB4_4:                                ; =>This Inner Loop Header: Depth=1
	v_ashrrev_i32_e32 v7, 31, v6
	v_lshl_add_u64 v[8:9], v[6:7], 3, s[10:11]
	global_load_dwordx2 v[8:9], v[8:9], off
	v_add_u32_e32 v1, 0x400, v1
	v_cmp_le_i32_e32 vcc, s18, v1
	s_or_b64 s[16:17], vcc, s[16:17]
	v_add_u32_e32 v6, s19, v6
	s_waitcnt vmcnt(0)
	v_pk_mul_f32 v[10:11], v[8:9], v[8:9] op_sel:[0,1] op_sel_hi:[0,0]
	v_pk_fma_f32 v[12:13], v[8:9], v[8:9], v[10:11] op_sel:[1,0,0] neg_lo:[0,0,1] neg_hi:[0,0,1]
	v_pk_fma_f32 v[8:9], v[8:9], v[8:9], v[10:11] op_sel:[1,0,0]
	s_nop 0
	v_mov_b32_e32 v13, v9
	v_pk_add_f32 v[4:5], v[4:5], v[12:13]
	s_andn2_b64 exec, exec, s[16:17]
	s_cbranch_execnz .LBB4_4
; %bb.5:
	s_or_b64 exec, exec, s[16:17]
	v_mov_b32_e32 v7, v4
	v_mov_b32_e32 v6, v5
.LBB4_6:
	s_or_b64 exec, exec, s[12:13]
	v_mbcnt_lo_u32_b32 v1, -1, 0
	v_mbcnt_hi_u32_b32 v1, -1, v1
	v_and_b32_e32 v3, 63, v1
	v_cmp_ne_u32_e32 vcc, 63, v3
	s_nop 1
	v_addc_co_u32_e32 v4, vcc, 0, v1, vcc
	v_lshlrev_b32_e32 v5, 2, v4
	ds_bpermute_b32 v4, v5, v6
	ds_bpermute_b32 v5, v5, v7
	v_cmp_gt_u32_e32 vcc, 62, v3
	s_waitcnt lgkmcnt(0)
	v_pk_add_f32 v[4:5], v[6:7], v[4:5]
	v_cndmask_b32_e64 v8, 0, 2, vcc
	v_add_lshl_u32 v8, v8, v1, 2
	ds_bpermute_b32 v6, v8, v4
	ds_bpermute_b32 v7, v8, v5
	v_cmp_gt_u32_e32 vcc, 60, v3
	s_waitcnt lgkmcnt(0)
	v_pk_add_f32 v[4:5], v[4:5], v[6:7]
	v_cndmask_b32_e64 v8, 0, 4, vcc
	v_add_lshl_u32 v8, v8, v1, 2
	;; [unrolled: 7-line block ×4, first 2 shown]
	ds_bpermute_b32 v6, v3, v4
	ds_bpermute_b32 v7, v3, v5
	v_mov_b32_e32 v3, 0x80
	v_lshl_or_b32 v1, v1, 2, v3
	s_waitcnt lgkmcnt(0)
	v_pk_add_f32 v[4:5], v[4:5], v[6:7]
	ds_bpermute_b32 v6, v1, v4
	ds_bpermute_b32 v7, v1, v5
	v_and_b32_e32 v1, 63, v0
	v_cmp_eq_u32_e32 vcc, 0, v1
	s_waitcnt lgkmcnt(0)
	v_pk_add_f32 v[4:5], v[4:5], v[6:7]
	s_and_saveexec_b64 s[12:13], vcc
; %bb.7:
	v_lshrrev_b32_e32 v1, 3, v0
	ds_write_b64 v1, v[4:5]
; %bb.8:
	s_or_b64 exec, exec, s[12:13]
	v_cmp_eq_u32_e32 vcc, 0, v0
	s_waitcnt lgkmcnt(0)
	s_barrier
	s_and_saveexec_b64 s[12:13], vcc
	s_cbranch_execz .LBB4_10
; %bb.9:
	v_mov_b32_e32 v1, 0
	ds_read2_b64 v[6:9], v1 offset0:1 offset1:2
	ds_read2_b64 v[10:13], v1 offset0:3 offset1:4
	;; [unrolled: 1-line block ×5, first 2 shown]
	s_waitcnt lgkmcnt(4)
	v_pk_add_f32 v[4:5], v[4:5], v[6:7]
	s_nop 0
	v_pk_add_f32 v[4:5], v[4:5], v[8:9]
	s_waitcnt lgkmcnt(3)
	v_pk_add_f32 v[4:5], v[4:5], v[10:11]
	s_nop 0
	v_pk_add_f32 v[4:5], v[4:5], v[12:13]
	s_waitcnt lgkmcnt(2)
	v_pk_add_f32 v[4:5], v[4:5], v[14:15]
	ds_read_b64 v[14:15], v1 offset:120
	v_pk_add_f32 v[4:5], v[4:5], v[16:17]
	s_waitcnt lgkmcnt(2)
	v_pk_add_f32 v[4:5], v[4:5], v[18:19]
	s_nop 0
	v_pk_add_f32 v[8:9], v[4:5], v[20:21]
	ds_read2_b64 v[4:7], v1 offset0:11 offset1:12
	s_waitcnt lgkmcnt(2)
	v_pk_add_f32 v[12:13], v[8:9], v[22:23]
	ds_read2_b64 v[8:11], v1 offset0:13 offset1:14
	v_pk_add_f32 v[12:13], v[12:13], v[24:25]
	s_waitcnt lgkmcnt(1)
	v_pk_add_f32 v[4:5], v[12:13], v[4:5]
	s_nop 0
	v_pk_add_f32 v[4:5], v[4:5], v[6:7]
	s_waitcnt lgkmcnt(0)
	v_pk_add_f32 v[4:5], v[4:5], v[8:9]
	s_nop 0
	v_pk_add_f32 v[4:5], v[4:5], v[10:11]
	s_nop 0
	v_pk_add_f32 v[4:5], v[4:5], v[14:15]
	ds_write_b64 v1, v[4:5]
.LBB4_10:
	s_or_b64 exec, exec, s[12:13]
	s_waitcnt lgkmcnt(0)
	s_barrier
	s_and_saveexec_b64 s[12:13], vcc
	s_cbranch_execz .LBB4_21
; %bb.11:
	s_mul_i32 s16, s8, s2
	s_mul_hi_u32 s17, s8, s3
	s_add_i32 s16, s17, s16
	s_mul_i32 s9, s9, s3
	s_add_i32 s9, s16, s9
	s_mul_i32 s8, s8, s3
	s_lshl_b64 s[8:9], s[8:9], 3
	s_add_u32 s8, s4, s8
	s_addc_u32 s9, s5, s9
	s_lshl_b64 s[4:5], s[6:7], 3
	s_add_u32 s16, s8, s4
	s_addc_u32 s17, s9, s5
	v_mov_b32_e32 v5, 0
	s_load_dword s19, s[16:17], 0x4
	ds_read_b32 v6, v5
	s_mul_i32 s2, s22, s2
	s_mul_hi_u32 s4, s22, s3
	s_add_i32 s2, s4, s2
	s_mul_i32 s4, s23, s3
	s_add_i32 s5, s2, s4
	s_mul_i32 s4, s22, s3
	s_lshl_b64 s[2:3], s[4:5], 3
	s_add_u32 s14, s14, s2
	s_waitcnt lgkmcnt(0)
	v_mul_f32_e64 v1, s19, s19
	v_max_f32_e32 v3, v6, v6
	s_addc_u32 s15, s15, s3
	v_max_f32_e32 v3, v3, v1
	s_cmp_lg_u64 s[20:21], 0
	v_cmp_nlt_f32_e32 vcc, 0, v3
	s_mov_b64 s[4:5], 0
	s_cselect_b64 s[2:3], -1, 0
	s_mov_b64 s[6:7], -1
	s_cbranch_vccz .LBB4_14
; %bb.12:
	v_mov_b32_e32 v4, 1.0
	v_mov_b32_e32 v8, v5
	v_mov_b32_e32 v9, v5
	s_mov_b64 s[6:7], 0
	s_and_b64 vcc, exec, s[2:3]
	ds_write_b64 v5, v[4:5]
	global_store_dwordx2 v5, v[8:9], s[14:15]
	s_cbranch_vccz .LBB4_14
; %bb.13:
	v_mov_b32_e32 v3, 0
	global_load_dword v5, v3, s[16:17]
	s_mov_b64 s[4:5], -1
	s_waitcnt vmcnt(0)
	global_store_dword v3, v5, s[20:21]
	global_store_dword v3, v4, s[16:17]
.LBB4_14:
	s_and_b64 vcc, exec, s[6:7]
	s_cbranch_vccz .LBB4_19
; %bb.15:
	v_mov_b32_e32 v3, 0
	global_load_dword v5, v3, s[16:17]
	s_mov_b32 s4, 0xf800000
	v_mov_b32_e32 v7, 0x260
	s_and_b64 s[2:3], exec, s[2:3]
	s_waitcnt vmcnt(0)
	v_fma_f32 v4, v5, v5, v1
	v_add_f32_e32 v4, v6, v4
	v_mul_f32_e32 v6, 0x4f800000, v4
	v_cmp_gt_f32_e32 vcc, s4, v4
	s_nop 1
	v_cndmask_b32_e32 v4, v4, v6, vcc
	v_sqrt_f32_e32 v6, v4
	s_nop 0
	v_add_u32_e32 v8, -1, v6
	v_add_u32_e32 v9, 1, v6
	v_fma_f32 v10, -v8, v6, v4
	v_fma_f32 v11, -v9, v6, v4
	v_cmp_ge_f32_e64 s[4:5], 0, v10
	s_nop 1
	v_cndmask_b32_e64 v6, v6, v8, s[4:5]
	v_cmp_lt_f32_e64 s[4:5], 0, v11
	s_nop 1
	v_cndmask_b32_e64 v6, v6, v9, s[4:5]
	v_mul_f32_e32 v8, 0x37800000, v6
	v_cndmask_b32_e32 v6, v6, v8, vcc
	v_cmp_class_f32_e32 vcc, v4, v7
	s_nop 1
	v_cndmask_b32_e32 v4, v6, v4, vcc
	v_cmp_le_f32_e32 vcc, 0, v5
	s_nop 1
	v_cndmask_b32_e64 v4, v4, -v4, vcc
	v_sub_f32_e32 v6, v5, v4
	v_sub_f32_e32 v5, v4, v5
	v_div_scale_f32 v7, s[4:5], v4, v4, -s19
	v_fmac_f32_e32 v1, v6, v6
	v_div_scale_f32 v9, s[6:7], v4, v4, v5
	v_rcp_f32_e32 v11, v7
	v_div_scale_f32 v12, s[8:9], v1, v1, v6
	v_div_scale_f32 v14, s[8:9], v1, v1, -s19
	v_rcp_f32_e32 v16, v9
	v_rcp_f32_e32 v17, v12
	;; [unrolled: 1-line block ×3, first 2 shown]
	v_fma_f32 v19, -v7, v11, 1.0
	v_div_scale_f32 v8, s[4:5], -s19, v4, -s19
	v_fma_f32 v20, -v9, v16, 1.0
	v_fmac_f32_e32 v11, v19, v11
	v_fma_f32 v19, -v12, v17, 1.0
	v_div_scale_f32 v13, vcc, v6, v1, v6
	v_fma_f32 v21, -v14, v18, 1.0
	v_fmac_f32_e32 v16, v20, v16
	v_mul_f32_e32 v20, v8, v11
	v_fmac_f32_e32 v17, v19, v17
	v_div_scale_f32 v10, s[6:7], v5, v4, v5
	v_div_scale_f32 v15, s[8:9], -s19, v1, -s19
	v_fmac_f32_e32 v18, v21, v18
	v_fma_f32 v21, -v7, v20, v8
	v_mul_f32_e32 v22, v13, v17
	v_mul_f32_e32 v19, v10, v16
	;; [unrolled: 1-line block ×3, first 2 shown]
	v_fmac_f32_e32 v20, v21, v11
	v_fma_f32 v21, -v12, v22, v13
	v_fma_f32 v24, -v9, v19, v10
	;; [unrolled: 1-line block ×3, first 2 shown]
	v_fmac_f32_e32 v22, v21, v17
	v_fmac_f32_e32 v19, v24, v16
	v_fma_f32 v8, -v7, v20, v8
	v_fmac_f32_e32 v23, v25, v18
	v_fma_f32 v7, -v12, v22, v13
	v_fma_f32 v9, -v9, v19, v10
	v_fma_f32 v10, -v14, v23, v15
	v_div_fmas_f32 v7, v7, v17, v22
	s_mov_b64 vcc, s[8:9]
	v_div_fixup_f32 v6, v7, v1, v6
	v_div_fmas_f32 v7, v10, v18, v23
	s_mov_b64 vcc, s[6:7]
	v_div_fixup_f32 v7, v7, v1, -s19
	v_div_fmas_f32 v1, v9, v16, v19
	s_mov_b64 vcc, s[4:5]
	ds_write_b64 v3, v[6:7]
	v_div_fixup_f32 v6, v1, v4, v5
	v_div_fmas_f32 v1, v8, v11, v20
	v_div_fixup_f32 v7, v1, v4, -s19
	s_mov_b64 vcc, s[2:3]
	global_store_dwordx2 v3, v[6:7], s[14:15]
	s_cbranch_vccz .LBB4_25
; %bb.16:
	v_mov_b32_e32 v1, 1.0
	global_store_dword v3, v4, s[20:21]
	global_store_dword v3, v1, s[16:17]
	s_cbranch_execnz .LBB4_18
.LBB4_17:
	v_mov_b32_e32 v1, 0
	global_store_dword v1, v4, s[16:17]
.LBB4_18:
	s_mov_b64 s[4:5], -1
.LBB4_19:
	s_andn2_b64 vcc, exec, s[4:5]
	s_cbranch_vccnz .LBB4_21
; %bb.20:
	v_mov_b32_e32 v1, 0
	global_store_dword v1, v1, s[16:17] offset:4
.LBB4_21:
	s_or_b64 exec, exec, s[12:13]
	s_waitcnt lgkmcnt(0)
	s_barrier
	s_and_saveexec_b64 s[2:3], s[0:1]
	s_cbranch_execz .LBB4_24
; %bb.22:
	v_mov_b32_e32 v1, 0
	ds_read_b64 v[4:5], v1
	s_lshl_b32 s2, s24, 10
	s_mov_b64 s[0:1], 0
	s_waitcnt lgkmcnt(0)
	v_mov_b32_e32 v6, v5
	v_mov_b32_e32 v7, v4
.LBB4_23:                               ; =>This Inner Loop Header: Depth=1
	v_ashrrev_i32_e32 v3, 31, v2
	v_lshl_add_u64 v[8:9], v[2:3], 3, s[10:11]
	global_load_dwordx2 v[10:11], v[8:9], off
	v_add_u32_e32 v0, 0x400, v0
	v_cmp_le_i32_e32 vcc, s18, v0
	s_or_b64 s[0:1], vcc, s[0:1]
	v_add_u32_e32 v2, s2, v2
	s_waitcnt vmcnt(0)
	v_pk_mul_f32 v[12:13], v[6:7], v[10:11] op_sel:[0,1]
	s_nop 0
	v_pk_fma_f32 v[14:15], v[4:5], v[10:11], v[12:13] neg_lo:[0,0,1] neg_hi:[0,0,1]
	v_pk_fma_f32 v[10:11], v[4:5], v[10:11], v[12:13] op_sel_hi:[1,0,1]
	s_nop 0
	v_mov_b32_e32 v15, v11
	global_store_dwordx2 v[8:9], v[14:15], off
	s_andn2_b64 exec, exec, s[0:1]
	s_cbranch_execnz .LBB4_23
.LBB4_24:
	s_endpgm
.LBB4_25:
	s_branch .LBB4_17
	.section	.rodata,"a",@progbits
	.p2align	6, 0x0
	.amdhsa_kernel _ZN9rocsolver6v33100L18larfg_kernel_smallILi1024E19rocblas_complex_numIfEifPS3_EEvT1_T3_llPT2_llS6_lS5_lPT0_l
		.amdhsa_group_segment_fixed_size 128
		.amdhsa_private_segment_fixed_size 0
		.amdhsa_kernarg_size 104
		.amdhsa_user_sgpr_count 2
		.amdhsa_user_sgpr_dispatch_ptr 0
		.amdhsa_user_sgpr_queue_ptr 0
		.amdhsa_user_sgpr_kernarg_segment_ptr 1
		.amdhsa_user_sgpr_dispatch_id 0
		.amdhsa_user_sgpr_kernarg_preload_length 0
		.amdhsa_user_sgpr_kernarg_preload_offset 0
		.amdhsa_user_sgpr_private_segment_size 0
		.amdhsa_uses_dynamic_stack 0
		.amdhsa_enable_private_segment 0
		.amdhsa_system_sgpr_workgroup_id_x 1
		.amdhsa_system_sgpr_workgroup_id_y 0
		.amdhsa_system_sgpr_workgroup_id_z 1
		.amdhsa_system_sgpr_workgroup_info 0
		.amdhsa_system_vgpr_workitem_id 0
		.amdhsa_next_free_vgpr 26
		.amdhsa_next_free_sgpr 26
		.amdhsa_accum_offset 28
		.amdhsa_reserve_vcc 1
		.amdhsa_float_round_mode_32 0
		.amdhsa_float_round_mode_16_64 0
		.amdhsa_float_denorm_mode_32 3
		.amdhsa_float_denorm_mode_16_64 3
		.amdhsa_dx10_clamp 1
		.amdhsa_ieee_mode 1
		.amdhsa_fp16_overflow 0
		.amdhsa_tg_split 0
		.amdhsa_exception_fp_ieee_invalid_op 0
		.amdhsa_exception_fp_denorm_src 0
		.amdhsa_exception_fp_ieee_div_zero 0
		.amdhsa_exception_fp_ieee_overflow 0
		.amdhsa_exception_fp_ieee_underflow 0
		.amdhsa_exception_fp_ieee_inexact 0
		.amdhsa_exception_int_div_zero 0
	.end_amdhsa_kernel
	.section	.text._ZN9rocsolver6v33100L18larfg_kernel_smallILi1024E19rocblas_complex_numIfEifPS3_EEvT1_T3_llPT2_llS6_lS5_lPT0_l,"axG",@progbits,_ZN9rocsolver6v33100L18larfg_kernel_smallILi1024E19rocblas_complex_numIfEifPS3_EEvT1_T3_llPT2_llS6_lS5_lPT0_l,comdat
.Lfunc_end4:
	.size	_ZN9rocsolver6v33100L18larfg_kernel_smallILi1024E19rocblas_complex_numIfEifPS3_EEvT1_T3_llPT2_llS6_lS5_lPT0_l, .Lfunc_end4-_ZN9rocsolver6v33100L18larfg_kernel_smallILi1024E19rocblas_complex_numIfEifPS3_EEvT1_T3_llPT2_llS6_lS5_lPT0_l
                                        ; -- End function
	.set _ZN9rocsolver6v33100L18larfg_kernel_smallILi1024E19rocblas_complex_numIfEifPS3_EEvT1_T3_llPT2_llS6_lS5_lPT0_l.num_vgpr, 26
	.set _ZN9rocsolver6v33100L18larfg_kernel_smallILi1024E19rocblas_complex_numIfEifPS3_EEvT1_T3_llPT2_llS6_lS5_lPT0_l.num_agpr, 0
	.set _ZN9rocsolver6v33100L18larfg_kernel_smallILi1024E19rocblas_complex_numIfEifPS3_EEvT1_T3_llPT2_llS6_lS5_lPT0_l.numbered_sgpr, 26
	.set _ZN9rocsolver6v33100L18larfg_kernel_smallILi1024E19rocblas_complex_numIfEifPS3_EEvT1_T3_llPT2_llS6_lS5_lPT0_l.num_named_barrier, 0
	.set _ZN9rocsolver6v33100L18larfg_kernel_smallILi1024E19rocblas_complex_numIfEifPS3_EEvT1_T3_llPT2_llS6_lS5_lPT0_l.private_seg_size, 0
	.set _ZN9rocsolver6v33100L18larfg_kernel_smallILi1024E19rocblas_complex_numIfEifPS3_EEvT1_T3_llPT2_llS6_lS5_lPT0_l.uses_vcc, 1
	.set _ZN9rocsolver6v33100L18larfg_kernel_smallILi1024E19rocblas_complex_numIfEifPS3_EEvT1_T3_llPT2_llS6_lS5_lPT0_l.uses_flat_scratch, 0
	.set _ZN9rocsolver6v33100L18larfg_kernel_smallILi1024E19rocblas_complex_numIfEifPS3_EEvT1_T3_llPT2_llS6_lS5_lPT0_l.has_dyn_sized_stack, 0
	.set _ZN9rocsolver6v33100L18larfg_kernel_smallILi1024E19rocblas_complex_numIfEifPS3_EEvT1_T3_llPT2_llS6_lS5_lPT0_l.has_recursion, 0
	.set _ZN9rocsolver6v33100L18larfg_kernel_smallILi1024E19rocblas_complex_numIfEifPS3_EEvT1_T3_llPT2_llS6_lS5_lPT0_l.has_indirect_call, 0
	.section	.AMDGPU.csdata,"",@progbits
; Kernel info:
; codeLenInByte = 1912
; TotalNumSgprs: 32
; NumVgprs: 26
; NumAgprs: 0
; TotalNumVgprs: 26
; ScratchSize: 0
; MemoryBound: 0
; FloatMode: 240
; IeeeMode: 1
; LDSByteSize: 128 bytes/workgroup (compile time only)
; SGPRBlocks: 3
; VGPRBlocks: 3
; NumSGPRsForWavesPerEU: 32
; NumVGPRsForWavesPerEU: 26
; AccumOffset: 28
; Occupancy: 8
; WaveLimiterHint : 1
; COMPUTE_PGM_RSRC2:SCRATCH_EN: 0
; COMPUTE_PGM_RSRC2:USER_SGPR: 2
; COMPUTE_PGM_RSRC2:TRAP_HANDLER: 0
; COMPUTE_PGM_RSRC2:TGID_X_EN: 1
; COMPUTE_PGM_RSRC2:TGID_Y_EN: 0
; COMPUTE_PGM_RSRC2:TGID_Z_EN: 1
; COMPUTE_PGM_RSRC2:TIDIG_COMP_CNT: 0
; COMPUTE_PGM_RSRC3_GFX90A:ACCUM_OFFSET: 6
; COMPUTE_PGM_RSRC3_GFX90A:TG_SPLIT: 0
	.section	.text._ZN9rocsolver6v33100L18larfg_kernel_smallILi64E19rocblas_complex_numIfEifPKPS3_EEvT1_T3_llPT2_llS8_lS7_lPT0_l,"axG",@progbits,_ZN9rocsolver6v33100L18larfg_kernel_smallILi64E19rocblas_complex_numIfEifPKPS3_EEvT1_T3_llPT2_llS8_lS7_lPT0_l,comdat
	.globl	_ZN9rocsolver6v33100L18larfg_kernel_smallILi64E19rocblas_complex_numIfEifPKPS3_EEvT1_T3_llPT2_llS8_lS7_lPT0_l ; -- Begin function _ZN9rocsolver6v33100L18larfg_kernel_smallILi64E19rocblas_complex_numIfEifPKPS3_EEvT1_T3_llPT2_llS8_lS7_lPT0_l
	.p2align	8
	.type	_ZN9rocsolver6v33100L18larfg_kernel_smallILi64E19rocblas_complex_numIfEifPKPS3_EEvT1_T3_llPT2_llS8_lS7_lPT0_l,@function
_ZN9rocsolver6v33100L18larfg_kernel_smallILi64E19rocblas_complex_numIfEifPKPS3_EEvT1_T3_llPT2_llS8_lS7_lPT0_l: ; @_ZN9rocsolver6v33100L18larfg_kernel_smallILi64E19rocblas_complex_numIfEifPKPS3_EEvT1_T3_llPT2_llS8_lS7_lPT0_l
; %bb.0:
	s_mov_b32 s18, s3
	s_load_dwordx4 s[12:15], s[0:1], 0x8
	s_load_dwordx8 s[4:11], s[0:1], 0x20
	s_load_dwordx2 s[2:3], s[0:1], 0x40
	s_ashr_i32 s19, s18, 31
	s_lshl_b64 s[20:21], s[18:19], 3
	s_waitcnt lgkmcnt(0)
	s_add_u32 s16, s12, s20
	s_addc_u32 s17, s13, s21
	s_add_u32 s10, s10, s20
	s_addc_u32 s11, s11, s21
	s_load_dwordx2 s[10:11], s[10:11], 0x0
	s_cmp_eq_u64 s[4:5], 0
	s_mov_b64 s[12:13], 0
	s_cbranch_scc1 .LBB5_2
; %bb.1:
	s_mul_i32 s12, s8, s19
	s_mul_hi_u32 s13, s8, s18
	s_add_i32 s12, s13, s12
	s_mul_i32 s9, s9, s18
	s_add_i32 s9, s12, s9
	s_mul_i32 s8, s8, s18
	s_lshl_b64 s[8:9], s[8:9], 2
	s_add_u32 s8, s4, s8
	s_addc_u32 s9, s5, s9
	s_lshl_b64 s[4:5], s[6:7], 2
	s_add_u32 s12, s8, s4
	s_addc_u32 s13, s9, s5
.LBB5_2:
	s_load_dwordx2 s[4:5], s[16:17], 0x0
	s_load_dword s24, s[0:1], 0x0
	s_load_dword s25, s[0:1], 0x48
	s_lshl_b64 s[2:3], s[2:3], 3
	s_waitcnt lgkmcnt(0)
	s_add_u32 s10, s10, s2
	s_addc_u32 s11, s11, s3
	s_add_i32 s24, s24, -1
	v_mov_b32_e32 v5, 0
	v_cmp_gt_i32_e64 s[2:3], s24, v0
	v_mul_lo_u32 v2, v0, s25
	v_mov_b32_e32 v4, v5
	s_and_saveexec_b64 s[6:7], s[2:3]
	s_cbranch_execz .LBB5_6
; %bb.3:
	v_mov_b32_e32 v4, 0
	v_mul_lo_u32 v6, v0, s25
	s_lshl_b32 s16, s25, 6
	s_mov_b64 s[8:9], 0
	v_mov_b32_e32 v1, v0
	v_mov_b32_e32 v5, v4
.LBB5_4:                                ; =>This Inner Loop Header: Depth=1
	v_ashrrev_i32_e32 v7, 31, v6
	v_lshl_add_u64 v[8:9], v[6:7], 3, s[10:11]
	flat_load_dwordx2 v[8:9], v[8:9]
	v_add_u32_e32 v1, 64, v1
	v_cmp_le_i32_e32 vcc, s24, v1
	s_or_b64 s[8:9], vcc, s[8:9]
	v_add_u32_e32 v6, s16, v6
	s_waitcnt vmcnt(0) lgkmcnt(0)
	v_pk_mul_f32 v[10:11], v[8:9], v[8:9] op_sel:[1,1] op_sel_hi:[0,1]
	v_pk_fma_f32 v[12:13], v[8:9], v[8:9], v[10:11]
	v_pk_fma_f32 v[8:9], v[8:9], v[8:9], v[10:11] op_sel_hi:[0,1,1] neg_lo:[0,0,1] neg_hi:[0,0,1]
	v_mov_b32_e32 v13, v9
	v_pk_add_f32 v[4:5], v[4:5], v[12:13]
	s_andn2_b64 exec, exec, s[8:9]
	s_cbranch_execnz .LBB5_4
; %bb.5:
	s_or_b64 exec, exec, s[8:9]
.LBB5_6:
	s_or_b64 exec, exec, s[6:7]
	v_mbcnt_lo_u32_b32 v1, -1, 0
	v_mbcnt_hi_u32_b32 v1, -1, v1
	v_and_b32_e32 v3, 63, v1
	v_cmp_ne_u32_e32 vcc, 63, v3
	s_nop 1
	v_addc_co_u32_e32 v6, vcc, 0, v1, vcc
	v_lshlrev_b32_e32 v7, 2, v6
	ds_bpermute_b32 v6, v7, v4
	ds_bpermute_b32 v7, v7, v5
	v_cmp_gt_u32_e32 vcc, 62, v3
	s_waitcnt lgkmcnt(0)
	v_pk_add_f32 v[4:5], v[4:5], v[6:7]
	v_cndmask_b32_e64 v8, 0, 2, vcc
	v_add_lshl_u32 v8, v8, v1, 2
	ds_bpermute_b32 v6, v8, v4
	ds_bpermute_b32 v7, v8, v5
	v_cmp_gt_u32_e32 vcc, 60, v3
	s_waitcnt lgkmcnt(0)
	v_pk_add_f32 v[4:5], v[4:5], v[6:7]
	v_cndmask_b32_e64 v8, 0, 4, vcc
	v_add_lshl_u32 v8, v8, v1, 2
	;; [unrolled: 7-line block ×4, first 2 shown]
	ds_bpermute_b32 v6, v3, v4
	ds_bpermute_b32 v7, v3, v5
	v_mov_b32_e32 v3, 0x80
	v_lshl_or_b32 v1, v1, 2, v3
	v_cmp_eq_u32_e32 vcc, 0, v0
	s_waitcnt lgkmcnt(0)
	v_pk_add_f32 v[4:5], v[4:5], v[6:7]
	ds_bpermute_b32 v6, v1, v4
	ds_bpermute_b32 v7, v1, v5
	s_waitcnt lgkmcnt(0)
	v_pk_add_f32 v[4:5], v[4:5], v[6:7]
	s_and_saveexec_b64 s[6:7], vcc
; %bb.7:
	v_lshrrev_b32_e32 v1, 3, v0
	ds_write2_b32 v1, v4, v5 offset1:1
; %bb.8:
	s_or_b64 exec, exec, s[6:7]
	v_cmp_eq_u32_e32 vcc, 0, v0
	s_waitcnt lgkmcnt(0)
	; wave barrier
	s_and_saveexec_b64 s[6:7], vcc
; %bb.9:
	v_mov_b32_e32 v1, 0
	ds_write_b64 v1, v[4:5]
; %bb.10:
	s_or_b64 exec, exec, s[6:7]
	s_waitcnt lgkmcnt(0)
	; wave barrier
	s_and_saveexec_b64 s[16:17], vcc
	s_cbranch_execz .LBB5_16
; %bb.11:
	s_lshl_b64 s[6:7], s[14:15], 3
	s_add_u32 s14, s4, s6
	s_addc_u32 s15, s5, s7
	v_mov_b64_e32 v[4:5], s[14:15]
	flat_load_dword v1, v[4:5] offset:4
	s_load_dwordx4 s[4:7], s[0:1], 0x58
	v_mov_b32_e32 v5, 0
	ds_read_b32 v4, v5
	s_mov_b64 s[20:21], 0
	s_waitcnt lgkmcnt(0)
	s_mul_i32 s1, s6, s19
	s_mul_hi_u32 s8, s6, s18
	s_mul_i32 s7, s7, s18
	s_add_i32 s1, s8, s1
	s_mul_i32 s0, s6, s18
	s_add_i32 s1, s1, s7
	s_lshl_b64 s[0:1], s[0:1], 3
	s_add_u32 s18, s4, s0
	s_addc_u32 s19, s5, s1
	v_max_f32_e32 v6, v4, v4
	s_cmp_lg_u64 s[12:13], 0
	s_cselect_b64 s[0:1], -1, 0
	s_waitcnt vmcnt(0)
	v_mul_f32_e32 v3, v1, v1
	v_max_f32_e32 v6, v6, v3
	v_cmp_nlt_f32_e32 vcc, 0, v6
	s_and_saveexec_b64 s[4:5], vcc
	s_xor_b64 s[4:5], exec, s[4:5]
	s_cbranch_execz .LBB5_20
; %bb.12:
	v_mov_b32_e32 v4, 1.0
	v_mov_b32_e32 v6, v5
	v_mov_b32_e32 v7, v5
	s_and_b64 vcc, exec, s[0:1]
	ds_write_b64 v5, v[4:5]
	global_store_dwordx2 v5, v[6:7], s[18:19]
	s_cbranch_vccz .LBB5_25
; %bb.13:
	v_mov_b64_e32 v[6:7], s[14:15]
	flat_load_dword v1, v[6:7]
	v_mov_b32_e32 v3, 0
	s_mov_b64 s[6:7], -1
	s_waitcnt vmcnt(0) lgkmcnt(0)
	global_store_dword v3, v1, s[12:13]
	flat_store_dword v[6:7], v4
	s_and_b64 s[20:21], s[6:7], exec
                                        ; implicit-def: $vgpr3
                                        ; implicit-def: $vgpr4
                                        ; implicit-def: $vgpr1
	s_andn2_saveexec_b64 s[22:23], s[4:5]
	s_cbranch_execnz .LBB5_21
.LBB5_14:
	s_or_b64 exec, exec, s[22:23]
	s_and_b64 exec, exec, s[20:21]
	s_cbranch_execz .LBB5_16
.LBB5_15:
	v_mov_b32_e32 v1, 0
	v_mov_b64_e32 v[4:5], s[14:15]
	flat_store_dword v[4:5], v1 offset:4
.LBB5_16:
	s_or_b64 exec, exec, s[16:17]
	s_waitcnt lgkmcnt(0)
	; wave barrier
	s_and_saveexec_b64 s[0:1], s[2:3]
	s_cbranch_execz .LBB5_19
; %bb.17:
	v_mov_b32_e32 v1, 0
	ds_read_b64 v[4:5], v1
	s_lshl_b32 s2, s25, 6
	s_mov_b64 s[0:1], 0
	s_waitcnt lgkmcnt(0)
	v_mov_b32_e32 v6, v5
	v_mov_b32_e32 v7, v4
.LBB5_18:                               ; =>This Inner Loop Header: Depth=1
	v_ashrrev_i32_e32 v3, 31, v2
	v_lshl_add_u64 v[8:9], v[2:3], 3, s[10:11]
	flat_load_dwordx2 v[10:11], v[8:9]
	v_add_u32_e32 v0, 64, v0
	v_cmp_le_i32_e32 vcc, s24, v0
	s_or_b64 s[0:1], vcc, s[0:1]
	v_add_u32_e32 v2, s2, v2
	s_waitcnt vmcnt(0) lgkmcnt(0)
	v_pk_mul_f32 v[12:13], v[6:7], v[10:11] op_sel:[0,1]
	s_nop 0
	v_pk_fma_f32 v[14:15], v[4:5], v[10:11], v[12:13] neg_lo:[0,0,1] neg_hi:[0,0,1]
	v_pk_fma_f32 v[10:11], v[4:5], v[10:11], v[12:13] op_sel_hi:[1,0,1]
	s_nop 0
	v_mov_b32_e32 v15, v11
	flat_store_dwordx2 v[8:9], v[14:15]
	s_andn2_b64 exec, exec, s[0:1]
	s_cbranch_execnz .LBB5_18
.LBB5_19:
	s_endpgm
.LBB5_20:
	s_andn2_saveexec_b64 s[22:23], s[4:5]
	s_cbranch_execz .LBB5_14
.LBB5_21:
	v_mov_b64_e32 v[6:7], s[14:15]
	flat_load_dword v6, v[6:7]
	s_mov_b32 s4, 0xf800000
	v_mov_b32_e32 v8, 0x260
	s_and_b64 s[0:1], exec, s[0:1]
	s_waitcnt vmcnt(0) lgkmcnt(0)
	v_fma_f32 v5, v6, v6, v3
	v_add_f32_e32 v4, v4, v5
	v_mul_f32_e32 v5, 0x4f800000, v4
	v_cmp_gt_f32_e32 vcc, s4, v4
	s_nop 1
	v_cndmask_b32_e32 v5, v4, v5, vcc
	v_sqrt_f32_e32 v7, v5
	v_mov_b32_e32 v4, 0
	v_add_u32_e32 v9, -1, v7
	v_add_u32_e32 v10, 1, v7
	v_fma_f32 v11, -v9, v7, v5
	v_fma_f32 v12, -v10, v7, v5
	v_cmp_ge_f32_e64 s[4:5], 0, v11
	s_nop 1
	v_cndmask_b32_e64 v7, v7, v9, s[4:5]
	v_cmp_lt_f32_e64 s[4:5], 0, v12
	s_nop 1
	v_cndmask_b32_e64 v7, v7, v10, s[4:5]
	v_mul_f32_e32 v9, 0x37800000, v7
	v_cndmask_b32_e32 v7, v7, v9, vcc
	v_cmp_class_f32_e32 vcc, v5, v8
	s_nop 1
	v_cndmask_b32_e32 v5, v7, v5, vcc
	v_cmp_le_f32_e32 vcc, 0, v6
	s_nop 1
	v_cndmask_b32_e64 v5, v5, -v5, vcc
	v_sub_f32_e32 v7, v6, v5
	v_sub_f32_e32 v8, v5, v6
	v_div_scale_f32 v6, s[4:5], v5, v5, -v1
	v_fmac_f32_e32 v3, v7, v7
	v_div_scale_f32 v10, s[6:7], v5, v5, v8
	v_rcp_f32_e32 v12, v6
	v_div_scale_f32 v13, s[8:9], v3, v3, v7
	v_div_scale_f32 v15, s[8:9], v3, v3, -v1
	v_rcp_f32_e32 v17, v10
	v_rcp_f32_e32 v18, v13
	;; [unrolled: 1-line block ×3, first 2 shown]
	v_fma_f32 v20, -v6, v12, 1.0
	v_div_scale_f32 v9, s[4:5], -v1, v5, -v1
	v_fma_f32 v21, -v10, v17, 1.0
	v_fmac_f32_e32 v12, v20, v12
	v_fma_f32 v20, -v13, v18, 1.0
	v_div_scale_f32 v14, vcc, v7, v3, v7
	v_fma_f32 v22, -v15, v19, 1.0
	v_fmac_f32_e32 v17, v21, v17
	v_mul_f32_e32 v21, v9, v12
	v_fmac_f32_e32 v18, v20, v18
	v_div_scale_f32 v11, s[6:7], v8, v5, v8
	v_div_scale_f32 v16, s[8:9], -v1, v3, -v1
	v_fmac_f32_e32 v19, v22, v19
	v_fma_f32 v22, -v6, v21, v9
	v_mul_f32_e32 v23, v14, v18
	v_mul_f32_e32 v20, v11, v17
	;; [unrolled: 1-line block ×3, first 2 shown]
	v_fmac_f32_e32 v21, v22, v12
	v_fma_f32 v22, -v13, v23, v14
	v_fma_f32 v25, -v10, v20, v11
	;; [unrolled: 1-line block ×3, first 2 shown]
	v_fmac_f32_e32 v23, v22, v18
	v_fmac_f32_e32 v20, v25, v17
	v_fma_f32 v9, -v6, v21, v9
	v_fmac_f32_e32 v24, v26, v19
	v_fma_f32 v6, -v13, v23, v14
	v_fma_f32 v10, -v10, v20, v11
	;; [unrolled: 1-line block ×3, first 2 shown]
	v_div_fmas_f32 v6, v6, v18, v23
	s_mov_b64 vcc, s[8:9]
	v_div_fixup_f32 v6, v6, v3, v7
	v_div_fmas_f32 v7, v11, v19, v24
	s_mov_b64 vcc, s[6:7]
	v_div_fixup_f32 v7, v7, v3, -v1
	v_div_fmas_f32 v3, v10, v17, v20
	s_mov_b64 vcc, s[4:5]
	ds_write_b64 v4, v[6:7]
	v_div_fixup_f32 v6, v3, v5, v8
	v_div_fmas_f32 v3, v9, v12, v21
	v_div_fixup_f32 v7, v3, v5, -v1
	s_mov_b64 vcc, s[0:1]
	global_store_dwordx2 v4, v[6:7], s[18:19]
	s_cbranch_vccz .LBB5_26
; %bb.22:
	v_mov_b32_e32 v1, 1.0
	v_mov_b64_e32 v[6:7], s[14:15]
	global_store_dword v4, v5, s[12:13]
	flat_store_dword v[6:7], v1
	s_cbranch_execnz .LBB5_24
.LBB5_23:
	v_mov_b64_e32 v[6:7], s[14:15]
	flat_store_dword v[6:7], v5
.LBB5_24:
	s_or_b64 s[20:21], s[20:21], exec
	s_or_b64 exec, exec, s[22:23]
	s_and_b64 exec, exec, s[20:21]
	s_cbranch_execnz .LBB5_15
	s_branch .LBB5_16
.LBB5_25:
	s_mov_b64 s[6:7], 0
	s_and_b64 s[20:21], s[6:7], exec
                                        ; implicit-def: $vgpr3
                                        ; implicit-def: $vgpr4
                                        ; implicit-def: $vgpr1
	s_andn2_saveexec_b64 s[22:23], s[4:5]
	s_cbranch_execz .LBB5_14
	s_branch .LBB5_21
.LBB5_26:
	s_branch .LBB5_23
	.section	.rodata,"a",@progbits
	.p2align	6, 0x0
	.amdhsa_kernel _ZN9rocsolver6v33100L18larfg_kernel_smallILi64E19rocblas_complex_numIfEifPKPS3_EEvT1_T3_llPT2_llS8_lS7_lPT0_l
		.amdhsa_group_segment_fixed_size 8
		.amdhsa_private_segment_fixed_size 0
		.amdhsa_kernarg_size 104
		.amdhsa_user_sgpr_count 2
		.amdhsa_user_sgpr_dispatch_ptr 0
		.amdhsa_user_sgpr_queue_ptr 0
		.amdhsa_user_sgpr_kernarg_segment_ptr 1
		.amdhsa_user_sgpr_dispatch_id 0
		.amdhsa_user_sgpr_kernarg_preload_length 0
		.amdhsa_user_sgpr_kernarg_preload_offset 0
		.amdhsa_user_sgpr_private_segment_size 0
		.amdhsa_uses_dynamic_stack 0
		.amdhsa_enable_private_segment 0
		.amdhsa_system_sgpr_workgroup_id_x 1
		.amdhsa_system_sgpr_workgroup_id_y 0
		.amdhsa_system_sgpr_workgroup_id_z 1
		.amdhsa_system_sgpr_workgroup_info 0
		.amdhsa_system_vgpr_workitem_id 0
		.amdhsa_next_free_vgpr 27
		.amdhsa_next_free_sgpr 26
		.amdhsa_accum_offset 28
		.amdhsa_reserve_vcc 1
		.amdhsa_float_round_mode_32 0
		.amdhsa_float_round_mode_16_64 0
		.amdhsa_float_denorm_mode_32 3
		.amdhsa_float_denorm_mode_16_64 3
		.amdhsa_dx10_clamp 1
		.amdhsa_ieee_mode 1
		.amdhsa_fp16_overflow 0
		.amdhsa_tg_split 0
		.amdhsa_exception_fp_ieee_invalid_op 0
		.amdhsa_exception_fp_denorm_src 0
		.amdhsa_exception_fp_ieee_div_zero 0
		.amdhsa_exception_fp_ieee_overflow 0
		.amdhsa_exception_fp_ieee_underflow 0
		.amdhsa_exception_fp_ieee_inexact 0
		.amdhsa_exception_int_div_zero 0
	.end_amdhsa_kernel
	.section	.text._ZN9rocsolver6v33100L18larfg_kernel_smallILi64E19rocblas_complex_numIfEifPKPS3_EEvT1_T3_llPT2_llS8_lS7_lPT0_l,"axG",@progbits,_ZN9rocsolver6v33100L18larfg_kernel_smallILi64E19rocblas_complex_numIfEifPKPS3_EEvT1_T3_llPT2_llS8_lS7_lPT0_l,comdat
.Lfunc_end5:
	.size	_ZN9rocsolver6v33100L18larfg_kernel_smallILi64E19rocblas_complex_numIfEifPKPS3_EEvT1_T3_llPT2_llS8_lS7_lPT0_l, .Lfunc_end5-_ZN9rocsolver6v33100L18larfg_kernel_smallILi64E19rocblas_complex_numIfEifPKPS3_EEvT1_T3_llPT2_llS8_lS7_lPT0_l
                                        ; -- End function
	.set _ZN9rocsolver6v33100L18larfg_kernel_smallILi64E19rocblas_complex_numIfEifPKPS3_EEvT1_T3_llPT2_llS8_lS7_lPT0_l.num_vgpr, 27
	.set _ZN9rocsolver6v33100L18larfg_kernel_smallILi64E19rocblas_complex_numIfEifPKPS3_EEvT1_T3_llPT2_llS8_lS7_lPT0_l.num_agpr, 0
	.set _ZN9rocsolver6v33100L18larfg_kernel_smallILi64E19rocblas_complex_numIfEifPKPS3_EEvT1_T3_llPT2_llS8_lS7_lPT0_l.numbered_sgpr, 26
	.set _ZN9rocsolver6v33100L18larfg_kernel_smallILi64E19rocblas_complex_numIfEifPKPS3_EEvT1_T3_llPT2_llS8_lS7_lPT0_l.num_named_barrier, 0
	.set _ZN9rocsolver6v33100L18larfg_kernel_smallILi64E19rocblas_complex_numIfEifPKPS3_EEvT1_T3_llPT2_llS8_lS7_lPT0_l.private_seg_size, 0
	.set _ZN9rocsolver6v33100L18larfg_kernel_smallILi64E19rocblas_complex_numIfEifPKPS3_EEvT1_T3_llPT2_llS8_lS7_lPT0_l.uses_vcc, 1
	.set _ZN9rocsolver6v33100L18larfg_kernel_smallILi64E19rocblas_complex_numIfEifPKPS3_EEvT1_T3_llPT2_llS8_lS7_lPT0_l.uses_flat_scratch, 0
	.set _ZN9rocsolver6v33100L18larfg_kernel_smallILi64E19rocblas_complex_numIfEifPKPS3_EEvT1_T3_llPT2_llS8_lS7_lPT0_l.has_dyn_sized_stack, 0
	.set _ZN9rocsolver6v33100L18larfg_kernel_smallILi64E19rocblas_complex_numIfEifPKPS3_EEvT1_T3_llPT2_llS8_lS7_lPT0_l.has_recursion, 0
	.set _ZN9rocsolver6v33100L18larfg_kernel_smallILi64E19rocblas_complex_numIfEifPKPS3_EEvT1_T3_llPT2_llS8_lS7_lPT0_l.has_indirect_call, 0
	.section	.AMDGPU.csdata,"",@progbits
; Kernel info:
; codeLenInByte = 1680
; TotalNumSgprs: 32
; NumVgprs: 27
; NumAgprs: 0
; TotalNumVgprs: 27
; ScratchSize: 0
; MemoryBound: 0
; FloatMode: 240
; IeeeMode: 1
; LDSByteSize: 8 bytes/workgroup (compile time only)
; SGPRBlocks: 3
; VGPRBlocks: 3
; NumSGPRsForWavesPerEU: 32
; NumVGPRsForWavesPerEU: 27
; AccumOffset: 28
; Occupancy: 8
; WaveLimiterHint : 1
; COMPUTE_PGM_RSRC2:SCRATCH_EN: 0
; COMPUTE_PGM_RSRC2:USER_SGPR: 2
; COMPUTE_PGM_RSRC2:TRAP_HANDLER: 0
; COMPUTE_PGM_RSRC2:TGID_X_EN: 1
; COMPUTE_PGM_RSRC2:TGID_Y_EN: 0
; COMPUTE_PGM_RSRC2:TGID_Z_EN: 1
; COMPUTE_PGM_RSRC2:TIDIG_COMP_CNT: 0
; COMPUTE_PGM_RSRC3_GFX90A:ACCUM_OFFSET: 6
; COMPUTE_PGM_RSRC3_GFX90A:TG_SPLIT: 0
	.section	.text._ZN9rocsolver6v33100L18larfg_kernel_smallILi128E19rocblas_complex_numIfEifPKPS3_EEvT1_T3_llPT2_llS8_lS7_lPT0_l,"axG",@progbits,_ZN9rocsolver6v33100L18larfg_kernel_smallILi128E19rocblas_complex_numIfEifPKPS3_EEvT1_T3_llPT2_llS8_lS7_lPT0_l,comdat
	.globl	_ZN9rocsolver6v33100L18larfg_kernel_smallILi128E19rocblas_complex_numIfEifPKPS3_EEvT1_T3_llPT2_llS8_lS7_lPT0_l ; -- Begin function _ZN9rocsolver6v33100L18larfg_kernel_smallILi128E19rocblas_complex_numIfEifPKPS3_EEvT1_T3_llPT2_llS8_lS7_lPT0_l
	.p2align	8
	.type	_ZN9rocsolver6v33100L18larfg_kernel_smallILi128E19rocblas_complex_numIfEifPKPS3_EEvT1_T3_llPT2_llS8_lS7_lPT0_l,@function
_ZN9rocsolver6v33100L18larfg_kernel_smallILi128E19rocblas_complex_numIfEifPKPS3_EEvT1_T3_llPT2_llS8_lS7_lPT0_l: ; @_ZN9rocsolver6v33100L18larfg_kernel_smallILi128E19rocblas_complex_numIfEifPKPS3_EEvT1_T3_llPT2_llS8_lS7_lPT0_l
; %bb.0:
	s_mov_b32 s18, s3
	s_load_dwordx4 s[12:15], s[0:1], 0x8
	s_load_dwordx8 s[4:11], s[0:1], 0x20
	s_load_dwordx2 s[2:3], s[0:1], 0x40
	s_ashr_i32 s19, s18, 31
	s_lshl_b64 s[20:21], s[18:19], 3
	s_waitcnt lgkmcnt(0)
	s_add_u32 s16, s12, s20
	s_addc_u32 s17, s13, s21
	s_add_u32 s10, s10, s20
	s_addc_u32 s11, s11, s21
	s_load_dwordx2 s[10:11], s[10:11], 0x0
	s_cmp_eq_u64 s[4:5], 0
	s_mov_b64 s[12:13], 0
	s_cbranch_scc1 .LBB6_2
; %bb.1:
	s_mul_i32 s12, s8, s19
	s_mul_hi_u32 s13, s8, s18
	s_add_i32 s12, s13, s12
	s_mul_i32 s9, s9, s18
	s_add_i32 s9, s12, s9
	s_mul_i32 s8, s8, s18
	s_lshl_b64 s[8:9], s[8:9], 2
	s_add_u32 s8, s4, s8
	s_addc_u32 s9, s5, s9
	s_lshl_b64 s[4:5], s[6:7], 2
	s_add_u32 s12, s8, s4
	s_addc_u32 s13, s9, s5
.LBB6_2:
	s_load_dwordx2 s[4:5], s[16:17], 0x0
	s_load_dword s24, s[0:1], 0x0
	s_load_dword s25, s[0:1], 0x48
	s_lshl_b64 s[2:3], s[2:3], 3
	s_waitcnt lgkmcnt(0)
	s_add_u32 s10, s10, s2
	s_addc_u32 s11, s11, s3
	s_add_i32 s24, s24, -1
	v_mov_b32_e32 v5, 0
	v_cmp_gt_i32_e64 s[2:3], s24, v0
	v_mul_lo_u32 v2, v0, s25
	v_mov_b32_e32 v4, v5
	s_and_saveexec_b64 s[6:7], s[2:3]
	s_cbranch_execz .LBB6_6
; %bb.3:
	v_mov_b32_e32 v4, 0
	v_mul_lo_u32 v6, v0, s25
	s_lshl_b32 s16, s25, 7
	s_mov_b64 s[8:9], 0
	v_mov_b32_e32 v1, v0
	v_mov_b32_e32 v5, v4
.LBB6_4:                                ; =>This Inner Loop Header: Depth=1
	v_ashrrev_i32_e32 v7, 31, v6
	v_lshl_add_u64 v[8:9], v[6:7], 3, s[10:11]
	flat_load_dwordx2 v[8:9], v[8:9]
	v_add_u32_e32 v1, 0x80, v1
	v_cmp_le_i32_e32 vcc, s24, v1
	s_or_b64 s[8:9], vcc, s[8:9]
	v_add_u32_e32 v6, s16, v6
	s_waitcnt vmcnt(0) lgkmcnt(0)
	v_pk_mul_f32 v[10:11], v[8:9], v[8:9] op_sel:[1,1] op_sel_hi:[0,1]
	v_pk_fma_f32 v[12:13], v[8:9], v[8:9], v[10:11]
	v_pk_fma_f32 v[8:9], v[8:9], v[8:9], v[10:11] op_sel_hi:[0,1,1] neg_lo:[0,0,1] neg_hi:[0,0,1]
	v_mov_b32_e32 v13, v9
	v_pk_add_f32 v[4:5], v[4:5], v[12:13]
	s_andn2_b64 exec, exec, s[8:9]
	s_cbranch_execnz .LBB6_4
; %bb.5:
	s_or_b64 exec, exec, s[8:9]
.LBB6_6:
	s_or_b64 exec, exec, s[6:7]
	v_mbcnt_lo_u32_b32 v1, -1, 0
	v_mbcnt_hi_u32_b32 v1, -1, v1
	v_and_b32_e32 v3, 63, v1
	v_cmp_ne_u32_e32 vcc, 63, v3
	s_nop 1
	v_addc_co_u32_e32 v6, vcc, 0, v1, vcc
	v_lshlrev_b32_e32 v7, 2, v6
	ds_bpermute_b32 v6, v7, v4
	ds_bpermute_b32 v7, v7, v5
	v_cmp_gt_u32_e32 vcc, 62, v3
	s_waitcnt lgkmcnt(0)
	v_pk_add_f32 v[4:5], v[4:5], v[6:7]
	v_cndmask_b32_e64 v8, 0, 2, vcc
	v_add_lshl_u32 v8, v8, v1, 2
	ds_bpermute_b32 v6, v8, v4
	ds_bpermute_b32 v7, v8, v5
	v_cmp_gt_u32_e32 vcc, 60, v3
	s_waitcnt lgkmcnt(0)
	v_pk_add_f32 v[4:5], v[4:5], v[6:7]
	v_cndmask_b32_e64 v8, 0, 4, vcc
	v_add_lshl_u32 v8, v8, v1, 2
	;; [unrolled: 7-line block ×4, first 2 shown]
	ds_bpermute_b32 v6, v3, v4
	ds_bpermute_b32 v7, v3, v5
	v_mov_b32_e32 v3, 0x80
	v_lshl_or_b32 v1, v1, 2, v3
	s_waitcnt lgkmcnt(0)
	v_pk_add_f32 v[4:5], v[4:5], v[6:7]
	ds_bpermute_b32 v6, v1, v4
	ds_bpermute_b32 v7, v1, v5
	v_and_b32_e32 v1, 63, v0
	v_cmp_eq_u32_e32 vcc, 0, v1
	s_waitcnt lgkmcnt(0)
	v_pk_add_f32 v[4:5], v[4:5], v[6:7]
	s_and_saveexec_b64 s[6:7], vcc
; %bb.7:
	v_lshrrev_b32_e32 v1, 3, v0
	ds_write_b64 v1, v[4:5]
; %bb.8:
	s_or_b64 exec, exec, s[6:7]
	v_cmp_eq_u32_e32 vcc, 0, v0
	s_waitcnt lgkmcnt(0)
	s_barrier
	s_and_saveexec_b64 s[6:7], vcc
	s_cbranch_execz .LBB6_10
; %bb.9:
	v_mov_b32_e32 v1, 0
	ds_read_b64 v[6:7], v1 offset:8
	s_waitcnt lgkmcnt(0)
	v_pk_add_f32 v[4:5], v[4:5], v[6:7]
	ds_write_b64 v1, v[4:5]
.LBB6_10:
	s_or_b64 exec, exec, s[6:7]
	s_waitcnt lgkmcnt(0)
	s_barrier
	s_and_saveexec_b64 s[16:17], vcc
	s_cbranch_execz .LBB6_16
; %bb.11:
	s_lshl_b64 s[6:7], s[14:15], 3
	s_add_u32 s14, s4, s6
	s_addc_u32 s15, s5, s7
	v_mov_b64_e32 v[4:5], s[14:15]
	flat_load_dword v1, v[4:5] offset:4
	s_load_dwordx4 s[4:7], s[0:1], 0x58
	v_mov_b32_e32 v5, 0
	ds_read_b32 v4, v5
	s_mov_b64 s[20:21], 0
	s_waitcnt lgkmcnt(0)
	s_mul_i32 s1, s6, s19
	s_mul_hi_u32 s8, s6, s18
	s_mul_i32 s7, s7, s18
	s_add_i32 s1, s8, s1
	s_mul_i32 s0, s6, s18
	s_add_i32 s1, s1, s7
	s_lshl_b64 s[0:1], s[0:1], 3
	s_add_u32 s18, s4, s0
	s_addc_u32 s19, s5, s1
	v_max_f32_e32 v6, v4, v4
	s_cmp_lg_u64 s[12:13], 0
	s_cselect_b64 s[0:1], -1, 0
	s_waitcnt vmcnt(0)
	v_mul_f32_e32 v3, v1, v1
	v_max_f32_e32 v6, v6, v3
	v_cmp_nlt_f32_e32 vcc, 0, v6
	s_and_saveexec_b64 s[4:5], vcc
	s_xor_b64 s[4:5], exec, s[4:5]
	s_cbranch_execz .LBB6_20
; %bb.12:
	v_mov_b32_e32 v4, 1.0
	v_mov_b32_e32 v6, v5
	v_mov_b32_e32 v7, v5
	s_and_b64 vcc, exec, s[0:1]
	ds_write_b64 v5, v[4:5]
	global_store_dwordx2 v5, v[6:7], s[18:19]
	s_cbranch_vccz .LBB6_25
; %bb.13:
	v_mov_b64_e32 v[6:7], s[14:15]
	flat_load_dword v1, v[6:7]
	v_mov_b32_e32 v3, 0
	s_mov_b64 s[6:7], -1
	s_waitcnt vmcnt(0) lgkmcnt(0)
	global_store_dword v3, v1, s[12:13]
	flat_store_dword v[6:7], v4
	s_and_b64 s[20:21], s[6:7], exec
                                        ; implicit-def: $vgpr3
                                        ; implicit-def: $vgpr4
                                        ; implicit-def: $vgpr1
	s_andn2_saveexec_b64 s[22:23], s[4:5]
	s_cbranch_execnz .LBB6_21
.LBB6_14:
	s_or_b64 exec, exec, s[22:23]
	s_and_b64 exec, exec, s[20:21]
	s_cbranch_execz .LBB6_16
.LBB6_15:
	v_mov_b32_e32 v1, 0
	v_mov_b64_e32 v[4:5], s[14:15]
	flat_store_dword v[4:5], v1 offset:4
.LBB6_16:
	s_or_b64 exec, exec, s[16:17]
	s_waitcnt lgkmcnt(0)
	s_barrier
	s_and_saveexec_b64 s[0:1], s[2:3]
	s_cbranch_execz .LBB6_19
; %bb.17:
	v_mov_b32_e32 v1, 0
	ds_read_b64 v[4:5], v1
	s_lshl_b32 s2, s25, 7
	s_mov_b64 s[0:1], 0
	s_waitcnt lgkmcnt(0)
	v_mov_b32_e32 v6, v5
	v_mov_b32_e32 v7, v4
.LBB6_18:                               ; =>This Inner Loop Header: Depth=1
	v_ashrrev_i32_e32 v3, 31, v2
	v_lshl_add_u64 v[8:9], v[2:3], 3, s[10:11]
	flat_load_dwordx2 v[10:11], v[8:9]
	v_add_u32_e32 v0, 0x80, v0
	v_cmp_le_i32_e32 vcc, s24, v0
	s_or_b64 s[0:1], vcc, s[0:1]
	v_add_u32_e32 v2, s2, v2
	s_waitcnt vmcnt(0) lgkmcnt(0)
	v_pk_mul_f32 v[12:13], v[6:7], v[10:11] op_sel:[0,1]
	s_nop 0
	v_pk_fma_f32 v[14:15], v[4:5], v[10:11], v[12:13] neg_lo:[0,0,1] neg_hi:[0,0,1]
	v_pk_fma_f32 v[10:11], v[4:5], v[10:11], v[12:13] op_sel_hi:[1,0,1]
	s_nop 0
	v_mov_b32_e32 v15, v11
	flat_store_dwordx2 v[8:9], v[14:15]
	s_andn2_b64 exec, exec, s[0:1]
	s_cbranch_execnz .LBB6_18
.LBB6_19:
	s_endpgm
.LBB6_20:
	s_andn2_saveexec_b64 s[22:23], s[4:5]
	s_cbranch_execz .LBB6_14
.LBB6_21:
	v_mov_b64_e32 v[6:7], s[14:15]
	flat_load_dword v6, v[6:7]
	s_mov_b32 s4, 0xf800000
	v_mov_b32_e32 v8, 0x260
	s_and_b64 s[0:1], exec, s[0:1]
	s_waitcnt vmcnt(0) lgkmcnt(0)
	v_fma_f32 v5, v6, v6, v3
	v_add_f32_e32 v4, v4, v5
	v_mul_f32_e32 v5, 0x4f800000, v4
	v_cmp_gt_f32_e32 vcc, s4, v4
	s_nop 1
	v_cndmask_b32_e32 v5, v4, v5, vcc
	v_sqrt_f32_e32 v7, v5
	v_mov_b32_e32 v4, 0
	v_add_u32_e32 v9, -1, v7
	v_add_u32_e32 v10, 1, v7
	v_fma_f32 v11, -v9, v7, v5
	v_fma_f32 v12, -v10, v7, v5
	v_cmp_ge_f32_e64 s[4:5], 0, v11
	s_nop 1
	v_cndmask_b32_e64 v7, v7, v9, s[4:5]
	v_cmp_lt_f32_e64 s[4:5], 0, v12
	s_nop 1
	v_cndmask_b32_e64 v7, v7, v10, s[4:5]
	v_mul_f32_e32 v9, 0x37800000, v7
	v_cndmask_b32_e32 v7, v7, v9, vcc
	v_cmp_class_f32_e32 vcc, v5, v8
	s_nop 1
	v_cndmask_b32_e32 v5, v7, v5, vcc
	v_cmp_le_f32_e32 vcc, 0, v6
	s_nop 1
	v_cndmask_b32_e64 v5, v5, -v5, vcc
	v_sub_f32_e32 v7, v6, v5
	v_sub_f32_e32 v8, v5, v6
	v_div_scale_f32 v6, s[4:5], v5, v5, -v1
	v_fmac_f32_e32 v3, v7, v7
	v_div_scale_f32 v10, s[6:7], v5, v5, v8
	v_rcp_f32_e32 v12, v6
	v_div_scale_f32 v13, s[8:9], v3, v3, v7
	v_div_scale_f32 v15, s[8:9], v3, v3, -v1
	v_rcp_f32_e32 v17, v10
	v_rcp_f32_e32 v18, v13
	;; [unrolled: 1-line block ×3, first 2 shown]
	v_fma_f32 v20, -v6, v12, 1.0
	v_div_scale_f32 v9, s[4:5], -v1, v5, -v1
	v_fma_f32 v21, -v10, v17, 1.0
	v_fmac_f32_e32 v12, v20, v12
	v_fma_f32 v20, -v13, v18, 1.0
	v_div_scale_f32 v14, vcc, v7, v3, v7
	v_fma_f32 v22, -v15, v19, 1.0
	v_fmac_f32_e32 v17, v21, v17
	v_mul_f32_e32 v21, v9, v12
	v_fmac_f32_e32 v18, v20, v18
	v_div_scale_f32 v11, s[6:7], v8, v5, v8
	v_div_scale_f32 v16, s[8:9], -v1, v3, -v1
	v_fmac_f32_e32 v19, v22, v19
	v_fma_f32 v22, -v6, v21, v9
	v_mul_f32_e32 v23, v14, v18
	v_mul_f32_e32 v20, v11, v17
	;; [unrolled: 1-line block ×3, first 2 shown]
	v_fmac_f32_e32 v21, v22, v12
	v_fma_f32 v22, -v13, v23, v14
	v_fma_f32 v25, -v10, v20, v11
	;; [unrolled: 1-line block ×3, first 2 shown]
	v_fmac_f32_e32 v23, v22, v18
	v_fmac_f32_e32 v20, v25, v17
	v_fma_f32 v9, -v6, v21, v9
	v_fmac_f32_e32 v24, v26, v19
	v_fma_f32 v6, -v13, v23, v14
	v_fma_f32 v10, -v10, v20, v11
	v_fma_f32 v11, -v15, v24, v16
	v_div_fmas_f32 v6, v6, v18, v23
	s_mov_b64 vcc, s[8:9]
	v_div_fixup_f32 v6, v6, v3, v7
	v_div_fmas_f32 v7, v11, v19, v24
	s_mov_b64 vcc, s[6:7]
	v_div_fixup_f32 v7, v7, v3, -v1
	v_div_fmas_f32 v3, v10, v17, v20
	s_mov_b64 vcc, s[4:5]
	ds_write_b64 v4, v[6:7]
	v_div_fixup_f32 v6, v3, v5, v8
	v_div_fmas_f32 v3, v9, v12, v21
	v_div_fixup_f32 v7, v3, v5, -v1
	s_mov_b64 vcc, s[0:1]
	global_store_dwordx2 v4, v[6:7], s[18:19]
	s_cbranch_vccz .LBB6_26
; %bb.22:
	v_mov_b32_e32 v1, 1.0
	v_mov_b64_e32 v[6:7], s[14:15]
	global_store_dword v4, v5, s[12:13]
	flat_store_dword v[6:7], v1
	s_cbranch_execnz .LBB6_24
.LBB6_23:
	v_mov_b64_e32 v[6:7], s[14:15]
	flat_store_dword v[6:7], v5
.LBB6_24:
	s_or_b64 s[20:21], s[20:21], exec
	s_or_b64 exec, exec, s[22:23]
	s_and_b64 exec, exec, s[20:21]
	s_cbranch_execnz .LBB6_15
	s_branch .LBB6_16
.LBB6_25:
	s_mov_b64 s[6:7], 0
	s_and_b64 s[20:21], s[6:7], exec
                                        ; implicit-def: $vgpr3
                                        ; implicit-def: $vgpr4
                                        ; implicit-def: $vgpr1
	s_andn2_saveexec_b64 s[22:23], s[4:5]
	s_cbranch_execz .LBB6_14
	s_branch .LBB6_21
.LBB6_26:
	s_branch .LBB6_23
	.section	.rodata,"a",@progbits
	.p2align	6, 0x0
	.amdhsa_kernel _ZN9rocsolver6v33100L18larfg_kernel_smallILi128E19rocblas_complex_numIfEifPKPS3_EEvT1_T3_llPT2_llS8_lS7_lPT0_l
		.amdhsa_group_segment_fixed_size 16
		.amdhsa_private_segment_fixed_size 0
		.amdhsa_kernarg_size 104
		.amdhsa_user_sgpr_count 2
		.amdhsa_user_sgpr_dispatch_ptr 0
		.amdhsa_user_sgpr_queue_ptr 0
		.amdhsa_user_sgpr_kernarg_segment_ptr 1
		.amdhsa_user_sgpr_dispatch_id 0
		.amdhsa_user_sgpr_kernarg_preload_length 0
		.amdhsa_user_sgpr_kernarg_preload_offset 0
		.amdhsa_user_sgpr_private_segment_size 0
		.amdhsa_uses_dynamic_stack 0
		.amdhsa_enable_private_segment 0
		.amdhsa_system_sgpr_workgroup_id_x 1
		.amdhsa_system_sgpr_workgroup_id_y 0
		.amdhsa_system_sgpr_workgroup_id_z 1
		.amdhsa_system_sgpr_workgroup_info 0
		.amdhsa_system_vgpr_workitem_id 0
		.amdhsa_next_free_vgpr 27
		.amdhsa_next_free_sgpr 26
		.amdhsa_accum_offset 28
		.amdhsa_reserve_vcc 1
		.amdhsa_float_round_mode_32 0
		.amdhsa_float_round_mode_16_64 0
		.amdhsa_float_denorm_mode_32 3
		.amdhsa_float_denorm_mode_16_64 3
		.amdhsa_dx10_clamp 1
		.amdhsa_ieee_mode 1
		.amdhsa_fp16_overflow 0
		.amdhsa_tg_split 0
		.amdhsa_exception_fp_ieee_invalid_op 0
		.amdhsa_exception_fp_denorm_src 0
		.amdhsa_exception_fp_ieee_div_zero 0
		.amdhsa_exception_fp_ieee_overflow 0
		.amdhsa_exception_fp_ieee_underflow 0
		.amdhsa_exception_fp_ieee_inexact 0
		.amdhsa_exception_int_div_zero 0
	.end_amdhsa_kernel
	.section	.text._ZN9rocsolver6v33100L18larfg_kernel_smallILi128E19rocblas_complex_numIfEifPKPS3_EEvT1_T3_llPT2_llS8_lS7_lPT0_l,"axG",@progbits,_ZN9rocsolver6v33100L18larfg_kernel_smallILi128E19rocblas_complex_numIfEifPKPS3_EEvT1_T3_llPT2_llS8_lS7_lPT0_l,comdat
.Lfunc_end6:
	.size	_ZN9rocsolver6v33100L18larfg_kernel_smallILi128E19rocblas_complex_numIfEifPKPS3_EEvT1_T3_llPT2_llS8_lS7_lPT0_l, .Lfunc_end6-_ZN9rocsolver6v33100L18larfg_kernel_smallILi128E19rocblas_complex_numIfEifPKPS3_EEvT1_T3_llPT2_llS8_lS7_lPT0_l
                                        ; -- End function
	.set _ZN9rocsolver6v33100L18larfg_kernel_smallILi128E19rocblas_complex_numIfEifPKPS3_EEvT1_T3_llPT2_llS8_lS7_lPT0_l.num_vgpr, 27
	.set _ZN9rocsolver6v33100L18larfg_kernel_smallILi128E19rocblas_complex_numIfEifPKPS3_EEvT1_T3_llPT2_llS8_lS7_lPT0_l.num_agpr, 0
	.set _ZN9rocsolver6v33100L18larfg_kernel_smallILi128E19rocblas_complex_numIfEifPKPS3_EEvT1_T3_llPT2_llS8_lS7_lPT0_l.numbered_sgpr, 26
	.set _ZN9rocsolver6v33100L18larfg_kernel_smallILi128E19rocblas_complex_numIfEifPKPS3_EEvT1_T3_llPT2_llS8_lS7_lPT0_l.num_named_barrier, 0
	.set _ZN9rocsolver6v33100L18larfg_kernel_smallILi128E19rocblas_complex_numIfEifPKPS3_EEvT1_T3_llPT2_llS8_lS7_lPT0_l.private_seg_size, 0
	.set _ZN9rocsolver6v33100L18larfg_kernel_smallILi128E19rocblas_complex_numIfEifPKPS3_EEvT1_T3_llPT2_llS8_lS7_lPT0_l.uses_vcc, 1
	.set _ZN9rocsolver6v33100L18larfg_kernel_smallILi128E19rocblas_complex_numIfEifPKPS3_EEvT1_T3_llPT2_llS8_lS7_lPT0_l.uses_flat_scratch, 0
	.set _ZN9rocsolver6v33100L18larfg_kernel_smallILi128E19rocblas_complex_numIfEifPKPS3_EEvT1_T3_llPT2_llS8_lS7_lPT0_l.has_dyn_sized_stack, 0
	.set _ZN9rocsolver6v33100L18larfg_kernel_smallILi128E19rocblas_complex_numIfEifPKPS3_EEvT1_T3_llPT2_llS8_lS7_lPT0_l.has_recursion, 0
	.set _ZN9rocsolver6v33100L18larfg_kernel_smallILi128E19rocblas_complex_numIfEifPKPS3_EEvT1_T3_llPT2_llS8_lS7_lPT0_l.has_indirect_call, 0
	.section	.AMDGPU.csdata,"",@progbits
; Kernel info:
; codeLenInByte = 1728
; TotalNumSgprs: 32
; NumVgprs: 27
; NumAgprs: 0
; TotalNumVgprs: 27
; ScratchSize: 0
; MemoryBound: 0
; FloatMode: 240
; IeeeMode: 1
; LDSByteSize: 16 bytes/workgroup (compile time only)
; SGPRBlocks: 3
; VGPRBlocks: 3
; NumSGPRsForWavesPerEU: 32
; NumVGPRsForWavesPerEU: 27
; AccumOffset: 28
; Occupancy: 8
; WaveLimiterHint : 1
; COMPUTE_PGM_RSRC2:SCRATCH_EN: 0
; COMPUTE_PGM_RSRC2:USER_SGPR: 2
; COMPUTE_PGM_RSRC2:TRAP_HANDLER: 0
; COMPUTE_PGM_RSRC2:TGID_X_EN: 1
; COMPUTE_PGM_RSRC2:TGID_Y_EN: 0
; COMPUTE_PGM_RSRC2:TGID_Z_EN: 1
; COMPUTE_PGM_RSRC2:TIDIG_COMP_CNT: 0
; COMPUTE_PGM_RSRC3_GFX90A:ACCUM_OFFSET: 6
; COMPUTE_PGM_RSRC3_GFX90A:TG_SPLIT: 0
	.section	.text._ZN9rocsolver6v33100L18larfg_kernel_smallILi256E19rocblas_complex_numIfEifPKPS3_EEvT1_T3_llPT2_llS8_lS7_lPT0_l,"axG",@progbits,_ZN9rocsolver6v33100L18larfg_kernel_smallILi256E19rocblas_complex_numIfEifPKPS3_EEvT1_T3_llPT2_llS8_lS7_lPT0_l,comdat
	.globl	_ZN9rocsolver6v33100L18larfg_kernel_smallILi256E19rocblas_complex_numIfEifPKPS3_EEvT1_T3_llPT2_llS8_lS7_lPT0_l ; -- Begin function _ZN9rocsolver6v33100L18larfg_kernel_smallILi256E19rocblas_complex_numIfEifPKPS3_EEvT1_T3_llPT2_llS8_lS7_lPT0_l
	.p2align	8
	.type	_ZN9rocsolver6v33100L18larfg_kernel_smallILi256E19rocblas_complex_numIfEifPKPS3_EEvT1_T3_llPT2_llS8_lS7_lPT0_l,@function
_ZN9rocsolver6v33100L18larfg_kernel_smallILi256E19rocblas_complex_numIfEifPKPS3_EEvT1_T3_llPT2_llS8_lS7_lPT0_l: ; @_ZN9rocsolver6v33100L18larfg_kernel_smallILi256E19rocblas_complex_numIfEifPKPS3_EEvT1_T3_llPT2_llS8_lS7_lPT0_l
; %bb.0:
	s_mov_b32 s18, s3
	s_load_dwordx4 s[12:15], s[0:1], 0x8
	s_load_dwordx8 s[4:11], s[0:1], 0x20
	s_load_dwordx2 s[2:3], s[0:1], 0x40
	s_ashr_i32 s19, s18, 31
	s_lshl_b64 s[20:21], s[18:19], 3
	s_waitcnt lgkmcnt(0)
	s_add_u32 s16, s12, s20
	s_addc_u32 s17, s13, s21
	s_add_u32 s10, s10, s20
	s_addc_u32 s11, s11, s21
	s_load_dwordx2 s[10:11], s[10:11], 0x0
	s_cmp_eq_u64 s[4:5], 0
	s_mov_b64 s[12:13], 0
	s_cbranch_scc1 .LBB7_2
; %bb.1:
	s_mul_i32 s12, s8, s19
	s_mul_hi_u32 s13, s8, s18
	s_add_i32 s12, s13, s12
	s_mul_i32 s9, s9, s18
	s_add_i32 s9, s12, s9
	s_mul_i32 s8, s8, s18
	s_lshl_b64 s[8:9], s[8:9], 2
	s_add_u32 s8, s4, s8
	s_addc_u32 s9, s5, s9
	s_lshl_b64 s[4:5], s[6:7], 2
	s_add_u32 s12, s8, s4
	s_addc_u32 s13, s9, s5
.LBB7_2:
	s_load_dwordx2 s[4:5], s[16:17], 0x0
	s_load_dword s24, s[0:1], 0x0
	s_load_dword s25, s[0:1], 0x48
	s_lshl_b64 s[2:3], s[2:3], 3
	s_waitcnt lgkmcnt(0)
	s_add_u32 s10, s10, s2
	s_addc_u32 s11, s11, s3
	s_add_i32 s24, s24, -1
	v_mov_b32_e32 v5, 0
	v_cmp_gt_i32_e64 s[2:3], s24, v0
	v_mul_lo_u32 v2, v0, s25
	v_mov_b32_e32 v4, v5
	s_and_saveexec_b64 s[6:7], s[2:3]
	s_cbranch_execz .LBB7_6
; %bb.3:
	v_mov_b32_e32 v5, 0
	v_mul_lo_u32 v6, v0, s25
	s_lshl_b32 s16, s25, 8
	s_mov_b64 s[8:9], 0
	v_mov_b32_e32 v1, v0
	v_mov_b32_e32 v4, v5
.LBB7_4:                                ; =>This Inner Loop Header: Depth=1
	v_ashrrev_i32_e32 v7, 31, v6
	v_lshl_add_u64 v[8:9], v[6:7], 3, s[10:11]
	flat_load_dwordx2 v[8:9], v[8:9]
	v_add_u32_e32 v1, 0x100, v1
	v_cmp_le_i32_e32 vcc, s24, v1
	s_or_b64 s[8:9], vcc, s[8:9]
	v_add_u32_e32 v6, s16, v6
	s_waitcnt vmcnt(0) lgkmcnt(0)
	v_pk_mul_f32 v[10:11], v[8:9], v[8:9] op_sel:[1,1] op_sel_hi:[0,1]
	v_pk_fma_f32 v[12:13], v[8:9], v[8:9], v[10:11]
	v_pk_fma_f32 v[8:9], v[8:9], v[8:9], v[10:11] op_sel_hi:[0,1,1] neg_lo:[0,0,1] neg_hi:[0,0,1]
	v_mov_b32_e32 v13, v9
	v_pk_add_f32 v[4:5], v[4:5], v[12:13]
	s_andn2_b64 exec, exec, s[8:9]
	s_cbranch_execnz .LBB7_4
; %bb.5:
	s_or_b64 exec, exec, s[8:9]
.LBB7_6:
	s_or_b64 exec, exec, s[6:7]
	v_mbcnt_lo_u32_b32 v1, -1, 0
	v_mbcnt_hi_u32_b32 v1, -1, v1
	v_and_b32_e32 v3, 63, v1
	v_cmp_ne_u32_e32 vcc, 63, v3
	s_nop 1
	v_addc_co_u32_e32 v6, vcc, 0, v1, vcc
	v_lshlrev_b32_e32 v7, 2, v6
	ds_bpermute_b32 v6, v7, v4
	ds_bpermute_b32 v7, v7, v5
	v_cmp_gt_u32_e32 vcc, 62, v3
	s_waitcnt lgkmcnt(0)
	v_pk_add_f32 v[4:5], v[4:5], v[6:7]
	v_cndmask_b32_e64 v8, 0, 2, vcc
	v_add_lshl_u32 v8, v8, v1, 2
	ds_bpermute_b32 v6, v8, v4
	ds_bpermute_b32 v7, v8, v5
	v_cmp_gt_u32_e32 vcc, 60, v3
	s_waitcnt lgkmcnt(0)
	v_pk_add_f32 v[4:5], v[4:5], v[6:7]
	v_cndmask_b32_e64 v8, 0, 4, vcc
	v_add_lshl_u32 v8, v8, v1, 2
	;; [unrolled: 7-line block ×4, first 2 shown]
	ds_bpermute_b32 v6, v3, v4
	ds_bpermute_b32 v7, v3, v5
	v_mov_b32_e32 v3, 0x80
	v_lshl_or_b32 v1, v1, 2, v3
	s_waitcnt lgkmcnt(0)
	v_pk_add_f32 v[4:5], v[4:5], v[6:7]
	ds_bpermute_b32 v6, v1, v4
	ds_bpermute_b32 v7, v1, v5
	v_and_b32_e32 v1, 63, v0
	v_cmp_eq_u32_e32 vcc, 0, v1
	s_waitcnt lgkmcnt(0)
	v_pk_add_f32 v[4:5], v[4:5], v[6:7]
	s_and_saveexec_b64 s[6:7], vcc
; %bb.7:
	v_lshrrev_b32_e32 v1, 3, v0
	ds_write_b64 v1, v[4:5]
; %bb.8:
	s_or_b64 exec, exec, s[6:7]
	v_cmp_eq_u32_e32 vcc, 0, v0
	s_waitcnt lgkmcnt(0)
	s_barrier
	s_and_saveexec_b64 s[6:7], vcc
	s_cbranch_execz .LBB7_10
; %bb.9:
	v_mov_b32_e32 v1, 0
	ds_read2_b64 v[6:9], v1 offset0:1 offset1:2
	ds_read_b64 v[10:11], v1 offset:24
	s_waitcnt lgkmcnt(1)
	v_pk_add_f32 v[4:5], v[4:5], v[6:7]
	s_nop 0
	v_pk_add_f32 v[4:5], v[4:5], v[8:9]
	s_waitcnt lgkmcnt(0)
	v_pk_add_f32 v[4:5], v[4:5], v[10:11]
	ds_write_b64 v1, v[4:5]
.LBB7_10:
	s_or_b64 exec, exec, s[6:7]
	s_waitcnt lgkmcnt(0)
	s_barrier
	s_and_saveexec_b64 s[16:17], vcc
	s_cbranch_execz .LBB7_16
; %bb.11:
	s_lshl_b64 s[6:7], s[14:15], 3
	s_add_u32 s14, s4, s6
	s_addc_u32 s15, s5, s7
	v_mov_b64_e32 v[4:5], s[14:15]
	flat_load_dword v1, v[4:5] offset:4
	s_load_dwordx4 s[4:7], s[0:1], 0x58
	v_mov_b32_e32 v5, 0
	ds_read_b32 v4, v5
	s_mov_b64 s[20:21], 0
	s_waitcnt lgkmcnt(0)
	s_mul_i32 s1, s6, s19
	s_mul_hi_u32 s8, s6, s18
	s_mul_i32 s7, s7, s18
	s_add_i32 s1, s8, s1
	s_mul_i32 s0, s6, s18
	s_add_i32 s1, s1, s7
	s_lshl_b64 s[0:1], s[0:1], 3
	s_add_u32 s18, s4, s0
	s_addc_u32 s19, s5, s1
	v_max_f32_e32 v6, v4, v4
	s_cmp_lg_u64 s[12:13], 0
	s_cselect_b64 s[0:1], -1, 0
	s_waitcnt vmcnt(0)
	v_mul_f32_e32 v3, v1, v1
	v_max_f32_e32 v6, v6, v3
	v_cmp_nlt_f32_e32 vcc, 0, v6
	s_and_saveexec_b64 s[4:5], vcc
	s_xor_b64 s[4:5], exec, s[4:5]
	s_cbranch_execz .LBB7_20
; %bb.12:
	v_mov_b32_e32 v4, 1.0
	v_mov_b32_e32 v6, v5
	v_mov_b32_e32 v7, v5
	s_and_b64 vcc, exec, s[0:1]
	ds_write_b64 v5, v[4:5]
	global_store_dwordx2 v5, v[6:7], s[18:19]
	s_cbranch_vccz .LBB7_25
; %bb.13:
	v_mov_b64_e32 v[6:7], s[14:15]
	flat_load_dword v1, v[6:7]
	v_mov_b32_e32 v3, 0
	s_mov_b64 s[6:7], -1
	s_waitcnt vmcnt(0) lgkmcnt(0)
	global_store_dword v3, v1, s[12:13]
	flat_store_dword v[6:7], v4
	s_and_b64 s[20:21], s[6:7], exec
                                        ; implicit-def: $vgpr3
                                        ; implicit-def: $vgpr4
                                        ; implicit-def: $vgpr1
	s_andn2_saveexec_b64 s[22:23], s[4:5]
	s_cbranch_execnz .LBB7_21
.LBB7_14:
	s_or_b64 exec, exec, s[22:23]
	s_and_b64 exec, exec, s[20:21]
	s_cbranch_execz .LBB7_16
.LBB7_15:
	v_mov_b32_e32 v1, 0
	v_mov_b64_e32 v[4:5], s[14:15]
	flat_store_dword v[4:5], v1 offset:4
.LBB7_16:
	s_or_b64 exec, exec, s[16:17]
	s_waitcnt lgkmcnt(0)
	s_barrier
	s_and_saveexec_b64 s[0:1], s[2:3]
	s_cbranch_execz .LBB7_19
; %bb.17:
	v_mov_b32_e32 v1, 0
	ds_read_b64 v[4:5], v1
	s_lshl_b32 s2, s25, 8
	s_mov_b64 s[0:1], 0
	s_waitcnt lgkmcnt(0)
	v_mov_b32_e32 v6, v5
	v_mov_b32_e32 v7, v4
.LBB7_18:                               ; =>This Inner Loop Header: Depth=1
	v_ashrrev_i32_e32 v3, 31, v2
	v_lshl_add_u64 v[8:9], v[2:3], 3, s[10:11]
	flat_load_dwordx2 v[10:11], v[8:9]
	v_add_u32_e32 v0, 0x100, v0
	v_cmp_le_i32_e32 vcc, s24, v0
	s_or_b64 s[0:1], vcc, s[0:1]
	v_add_u32_e32 v2, s2, v2
	s_waitcnt vmcnt(0) lgkmcnt(0)
	v_pk_mul_f32 v[12:13], v[6:7], v[10:11] op_sel:[0,1]
	s_nop 0
	v_pk_fma_f32 v[14:15], v[4:5], v[10:11], v[12:13] neg_lo:[0,0,1] neg_hi:[0,0,1]
	v_pk_fma_f32 v[10:11], v[4:5], v[10:11], v[12:13] op_sel_hi:[1,0,1]
	s_nop 0
	v_mov_b32_e32 v15, v11
	flat_store_dwordx2 v[8:9], v[14:15]
	s_andn2_b64 exec, exec, s[0:1]
	s_cbranch_execnz .LBB7_18
.LBB7_19:
	s_endpgm
.LBB7_20:
	s_andn2_saveexec_b64 s[22:23], s[4:5]
	s_cbranch_execz .LBB7_14
.LBB7_21:
	v_mov_b64_e32 v[6:7], s[14:15]
	flat_load_dword v6, v[6:7]
	s_mov_b32 s4, 0xf800000
	v_mov_b32_e32 v8, 0x260
	s_and_b64 s[0:1], exec, s[0:1]
	s_waitcnt vmcnt(0) lgkmcnt(0)
	v_fma_f32 v5, v6, v6, v3
	v_add_f32_e32 v4, v4, v5
	v_mul_f32_e32 v5, 0x4f800000, v4
	v_cmp_gt_f32_e32 vcc, s4, v4
	s_nop 1
	v_cndmask_b32_e32 v5, v4, v5, vcc
	v_sqrt_f32_e32 v7, v5
	v_mov_b32_e32 v4, 0
	v_add_u32_e32 v9, -1, v7
	v_add_u32_e32 v10, 1, v7
	v_fma_f32 v11, -v9, v7, v5
	v_fma_f32 v12, -v10, v7, v5
	v_cmp_ge_f32_e64 s[4:5], 0, v11
	s_nop 1
	v_cndmask_b32_e64 v7, v7, v9, s[4:5]
	v_cmp_lt_f32_e64 s[4:5], 0, v12
	s_nop 1
	v_cndmask_b32_e64 v7, v7, v10, s[4:5]
	v_mul_f32_e32 v9, 0x37800000, v7
	v_cndmask_b32_e32 v7, v7, v9, vcc
	v_cmp_class_f32_e32 vcc, v5, v8
	s_nop 1
	v_cndmask_b32_e32 v5, v7, v5, vcc
	v_cmp_le_f32_e32 vcc, 0, v6
	s_nop 1
	v_cndmask_b32_e64 v5, v5, -v5, vcc
	v_sub_f32_e32 v7, v6, v5
	v_sub_f32_e32 v8, v5, v6
	v_div_scale_f32 v6, s[4:5], v5, v5, -v1
	v_fmac_f32_e32 v3, v7, v7
	v_div_scale_f32 v10, s[6:7], v5, v5, v8
	v_rcp_f32_e32 v12, v6
	v_div_scale_f32 v13, s[8:9], v3, v3, v7
	v_div_scale_f32 v15, s[8:9], v3, v3, -v1
	v_rcp_f32_e32 v17, v10
	v_rcp_f32_e32 v18, v13
	;; [unrolled: 1-line block ×3, first 2 shown]
	v_fma_f32 v20, -v6, v12, 1.0
	v_div_scale_f32 v9, s[4:5], -v1, v5, -v1
	v_fma_f32 v21, -v10, v17, 1.0
	v_fmac_f32_e32 v12, v20, v12
	v_fma_f32 v20, -v13, v18, 1.0
	v_div_scale_f32 v14, vcc, v7, v3, v7
	v_fma_f32 v22, -v15, v19, 1.0
	v_fmac_f32_e32 v17, v21, v17
	v_mul_f32_e32 v21, v9, v12
	v_fmac_f32_e32 v18, v20, v18
	v_div_scale_f32 v11, s[6:7], v8, v5, v8
	v_div_scale_f32 v16, s[8:9], -v1, v3, -v1
	v_fmac_f32_e32 v19, v22, v19
	v_fma_f32 v22, -v6, v21, v9
	v_mul_f32_e32 v23, v14, v18
	v_mul_f32_e32 v20, v11, v17
	;; [unrolled: 1-line block ×3, first 2 shown]
	v_fmac_f32_e32 v21, v22, v12
	v_fma_f32 v22, -v13, v23, v14
	v_fma_f32 v25, -v10, v20, v11
	;; [unrolled: 1-line block ×3, first 2 shown]
	v_fmac_f32_e32 v23, v22, v18
	v_fmac_f32_e32 v20, v25, v17
	v_fma_f32 v9, -v6, v21, v9
	v_fmac_f32_e32 v24, v26, v19
	v_fma_f32 v6, -v13, v23, v14
	v_fma_f32 v10, -v10, v20, v11
	;; [unrolled: 1-line block ×3, first 2 shown]
	v_div_fmas_f32 v6, v6, v18, v23
	s_mov_b64 vcc, s[8:9]
	v_div_fixup_f32 v6, v6, v3, v7
	v_div_fmas_f32 v7, v11, v19, v24
	s_mov_b64 vcc, s[6:7]
	v_div_fixup_f32 v7, v7, v3, -v1
	v_div_fmas_f32 v3, v10, v17, v20
	s_mov_b64 vcc, s[4:5]
	ds_write_b64 v4, v[6:7]
	v_div_fixup_f32 v6, v3, v5, v8
	v_div_fmas_f32 v3, v9, v12, v21
	v_div_fixup_f32 v7, v3, v5, -v1
	s_mov_b64 vcc, s[0:1]
	global_store_dwordx2 v4, v[6:7], s[18:19]
	s_cbranch_vccz .LBB7_26
; %bb.22:
	v_mov_b32_e32 v1, 1.0
	v_mov_b64_e32 v[6:7], s[14:15]
	global_store_dword v4, v5, s[12:13]
	flat_store_dword v[6:7], v1
	s_cbranch_execnz .LBB7_24
.LBB7_23:
	v_mov_b64_e32 v[6:7], s[14:15]
	flat_store_dword v[6:7], v5
.LBB7_24:
	s_or_b64 s[20:21], s[20:21], exec
	s_or_b64 exec, exec, s[22:23]
	s_and_b64 exec, exec, s[20:21]
	s_cbranch_execnz .LBB7_15
	s_branch .LBB7_16
.LBB7_25:
	s_mov_b64 s[6:7], 0
	s_and_b64 s[20:21], s[6:7], exec
                                        ; implicit-def: $vgpr3
                                        ; implicit-def: $vgpr4
                                        ; implicit-def: $vgpr1
	s_andn2_saveexec_b64 s[22:23], s[4:5]
	s_cbranch_execz .LBB7_14
	s_branch .LBB7_21
.LBB7_26:
	s_branch .LBB7_23
	.section	.rodata,"a",@progbits
	.p2align	6, 0x0
	.amdhsa_kernel _ZN9rocsolver6v33100L18larfg_kernel_smallILi256E19rocblas_complex_numIfEifPKPS3_EEvT1_T3_llPT2_llS8_lS7_lPT0_l
		.amdhsa_group_segment_fixed_size 32
		.amdhsa_private_segment_fixed_size 0
		.amdhsa_kernarg_size 104
		.amdhsa_user_sgpr_count 2
		.amdhsa_user_sgpr_dispatch_ptr 0
		.amdhsa_user_sgpr_queue_ptr 0
		.amdhsa_user_sgpr_kernarg_segment_ptr 1
		.amdhsa_user_sgpr_dispatch_id 0
		.amdhsa_user_sgpr_kernarg_preload_length 0
		.amdhsa_user_sgpr_kernarg_preload_offset 0
		.amdhsa_user_sgpr_private_segment_size 0
		.amdhsa_uses_dynamic_stack 0
		.amdhsa_enable_private_segment 0
		.amdhsa_system_sgpr_workgroup_id_x 1
		.amdhsa_system_sgpr_workgroup_id_y 0
		.amdhsa_system_sgpr_workgroup_id_z 1
		.amdhsa_system_sgpr_workgroup_info 0
		.amdhsa_system_vgpr_workitem_id 0
		.amdhsa_next_free_vgpr 27
		.amdhsa_next_free_sgpr 26
		.amdhsa_accum_offset 28
		.amdhsa_reserve_vcc 1
		.amdhsa_float_round_mode_32 0
		.amdhsa_float_round_mode_16_64 0
		.amdhsa_float_denorm_mode_32 3
		.amdhsa_float_denorm_mode_16_64 3
		.amdhsa_dx10_clamp 1
		.amdhsa_ieee_mode 1
		.amdhsa_fp16_overflow 0
		.amdhsa_tg_split 0
		.amdhsa_exception_fp_ieee_invalid_op 0
		.amdhsa_exception_fp_denorm_src 0
		.amdhsa_exception_fp_ieee_div_zero 0
		.amdhsa_exception_fp_ieee_overflow 0
		.amdhsa_exception_fp_ieee_underflow 0
		.amdhsa_exception_fp_ieee_inexact 0
		.amdhsa_exception_int_div_zero 0
	.end_amdhsa_kernel
	.section	.text._ZN9rocsolver6v33100L18larfg_kernel_smallILi256E19rocblas_complex_numIfEifPKPS3_EEvT1_T3_llPT2_llS8_lS7_lPT0_l,"axG",@progbits,_ZN9rocsolver6v33100L18larfg_kernel_smallILi256E19rocblas_complex_numIfEifPKPS3_EEvT1_T3_llPT2_llS8_lS7_lPT0_l,comdat
.Lfunc_end7:
	.size	_ZN9rocsolver6v33100L18larfg_kernel_smallILi256E19rocblas_complex_numIfEifPKPS3_EEvT1_T3_llPT2_llS8_lS7_lPT0_l, .Lfunc_end7-_ZN9rocsolver6v33100L18larfg_kernel_smallILi256E19rocblas_complex_numIfEifPKPS3_EEvT1_T3_llPT2_llS8_lS7_lPT0_l
                                        ; -- End function
	.set _ZN9rocsolver6v33100L18larfg_kernel_smallILi256E19rocblas_complex_numIfEifPKPS3_EEvT1_T3_llPT2_llS8_lS7_lPT0_l.num_vgpr, 27
	.set _ZN9rocsolver6v33100L18larfg_kernel_smallILi256E19rocblas_complex_numIfEifPKPS3_EEvT1_T3_llPT2_llS8_lS7_lPT0_l.num_agpr, 0
	.set _ZN9rocsolver6v33100L18larfg_kernel_smallILi256E19rocblas_complex_numIfEifPKPS3_EEvT1_T3_llPT2_llS8_lS7_lPT0_l.numbered_sgpr, 26
	.set _ZN9rocsolver6v33100L18larfg_kernel_smallILi256E19rocblas_complex_numIfEifPKPS3_EEvT1_T3_llPT2_llS8_lS7_lPT0_l.num_named_barrier, 0
	.set _ZN9rocsolver6v33100L18larfg_kernel_smallILi256E19rocblas_complex_numIfEifPKPS3_EEvT1_T3_llPT2_llS8_lS7_lPT0_l.private_seg_size, 0
	.set _ZN9rocsolver6v33100L18larfg_kernel_smallILi256E19rocblas_complex_numIfEifPKPS3_EEvT1_T3_llPT2_llS8_lS7_lPT0_l.uses_vcc, 1
	.set _ZN9rocsolver6v33100L18larfg_kernel_smallILi256E19rocblas_complex_numIfEifPKPS3_EEvT1_T3_llPT2_llS8_lS7_lPT0_l.uses_flat_scratch, 0
	.set _ZN9rocsolver6v33100L18larfg_kernel_smallILi256E19rocblas_complex_numIfEifPKPS3_EEvT1_T3_llPT2_llS8_lS7_lPT0_l.has_dyn_sized_stack, 0
	.set _ZN9rocsolver6v33100L18larfg_kernel_smallILi256E19rocblas_complex_numIfEifPKPS3_EEvT1_T3_llPT2_llS8_lS7_lPT0_l.has_recursion, 0
	.set _ZN9rocsolver6v33100L18larfg_kernel_smallILi256E19rocblas_complex_numIfEifPKPS3_EEvT1_T3_llPT2_llS8_lS7_lPT0_l.has_indirect_call, 0
	.section	.AMDGPU.csdata,"",@progbits
; Kernel info:
; codeLenInByte = 1760
; TotalNumSgprs: 32
; NumVgprs: 27
; NumAgprs: 0
; TotalNumVgprs: 27
; ScratchSize: 0
; MemoryBound: 0
; FloatMode: 240
; IeeeMode: 1
; LDSByteSize: 32 bytes/workgroup (compile time only)
; SGPRBlocks: 3
; VGPRBlocks: 3
; NumSGPRsForWavesPerEU: 32
; NumVGPRsForWavesPerEU: 27
; AccumOffset: 28
; Occupancy: 8
; WaveLimiterHint : 1
; COMPUTE_PGM_RSRC2:SCRATCH_EN: 0
; COMPUTE_PGM_RSRC2:USER_SGPR: 2
; COMPUTE_PGM_RSRC2:TRAP_HANDLER: 0
; COMPUTE_PGM_RSRC2:TGID_X_EN: 1
; COMPUTE_PGM_RSRC2:TGID_Y_EN: 0
; COMPUTE_PGM_RSRC2:TGID_Z_EN: 1
; COMPUTE_PGM_RSRC2:TIDIG_COMP_CNT: 0
; COMPUTE_PGM_RSRC3_GFX90A:ACCUM_OFFSET: 6
; COMPUTE_PGM_RSRC3_GFX90A:TG_SPLIT: 0
	.section	.text._ZN9rocsolver6v33100L18larfg_kernel_smallILi512E19rocblas_complex_numIfEifPKPS3_EEvT1_T3_llPT2_llS8_lS7_lPT0_l,"axG",@progbits,_ZN9rocsolver6v33100L18larfg_kernel_smallILi512E19rocblas_complex_numIfEifPKPS3_EEvT1_T3_llPT2_llS8_lS7_lPT0_l,comdat
	.globl	_ZN9rocsolver6v33100L18larfg_kernel_smallILi512E19rocblas_complex_numIfEifPKPS3_EEvT1_T3_llPT2_llS8_lS7_lPT0_l ; -- Begin function _ZN9rocsolver6v33100L18larfg_kernel_smallILi512E19rocblas_complex_numIfEifPKPS3_EEvT1_T3_llPT2_llS8_lS7_lPT0_l
	.p2align	8
	.type	_ZN9rocsolver6v33100L18larfg_kernel_smallILi512E19rocblas_complex_numIfEifPKPS3_EEvT1_T3_llPT2_llS8_lS7_lPT0_l,@function
_ZN9rocsolver6v33100L18larfg_kernel_smallILi512E19rocblas_complex_numIfEifPKPS3_EEvT1_T3_llPT2_llS8_lS7_lPT0_l: ; @_ZN9rocsolver6v33100L18larfg_kernel_smallILi512E19rocblas_complex_numIfEifPKPS3_EEvT1_T3_llPT2_llS8_lS7_lPT0_l
; %bb.0:
	s_mov_b32 s18, s3
	s_load_dwordx4 s[12:15], s[0:1], 0x8
	s_load_dwordx8 s[4:11], s[0:1], 0x20
	s_load_dwordx2 s[2:3], s[0:1], 0x40
	s_ashr_i32 s19, s18, 31
	s_lshl_b64 s[20:21], s[18:19], 3
	s_waitcnt lgkmcnt(0)
	s_add_u32 s16, s12, s20
	s_addc_u32 s17, s13, s21
	s_add_u32 s10, s10, s20
	s_addc_u32 s11, s11, s21
	s_load_dwordx2 s[10:11], s[10:11], 0x0
	s_cmp_eq_u64 s[4:5], 0
	s_mov_b64 s[12:13], 0
	s_cbranch_scc1 .LBB8_2
; %bb.1:
	s_mul_i32 s12, s8, s19
	s_mul_hi_u32 s13, s8, s18
	s_add_i32 s12, s13, s12
	s_mul_i32 s9, s9, s18
	s_add_i32 s9, s12, s9
	s_mul_i32 s8, s8, s18
	s_lshl_b64 s[8:9], s[8:9], 2
	s_add_u32 s8, s4, s8
	s_addc_u32 s9, s5, s9
	s_lshl_b64 s[4:5], s[6:7], 2
	s_add_u32 s12, s8, s4
	s_addc_u32 s13, s9, s5
.LBB8_2:
	s_load_dwordx2 s[4:5], s[16:17], 0x0
	s_load_dword s24, s[0:1], 0x0
	s_load_dword s25, s[0:1], 0x48
	s_lshl_b64 s[2:3], s[2:3], 3
	s_waitcnt lgkmcnt(0)
	s_add_u32 s10, s10, s2
	s_addc_u32 s11, s11, s3
	s_add_i32 s24, s24, -1
	v_mov_b32_e32 v5, 0
	v_cmp_gt_i32_e64 s[2:3], s24, v0
	v_mul_lo_u32 v2, v0, s25
	v_mov_b32_e32 v4, v5
	s_and_saveexec_b64 s[6:7], s[2:3]
	s_cbranch_execz .LBB8_6
; %bb.3:
	v_mov_b32_e32 v4, 0
	v_mul_lo_u32 v6, v0, s25
	s_lshl_b32 s16, s25, 9
	s_mov_b64 s[8:9], 0
	v_mov_b32_e32 v1, v0
	v_mov_b32_e32 v5, v4
.LBB8_4:                                ; =>This Inner Loop Header: Depth=1
	v_ashrrev_i32_e32 v7, 31, v6
	v_lshl_add_u64 v[8:9], v[6:7], 3, s[10:11]
	flat_load_dwordx2 v[8:9], v[8:9]
	v_add_u32_e32 v1, 0x200, v1
	v_cmp_le_i32_e32 vcc, s24, v1
	s_or_b64 s[8:9], vcc, s[8:9]
	v_add_u32_e32 v6, s16, v6
	s_waitcnt vmcnt(0) lgkmcnt(0)
	v_pk_mul_f32 v[10:11], v[8:9], v[8:9] op_sel:[1,1] op_sel_hi:[0,1]
	v_pk_fma_f32 v[12:13], v[8:9], v[8:9], v[10:11]
	v_pk_fma_f32 v[8:9], v[8:9], v[8:9], v[10:11] op_sel_hi:[0,1,1] neg_lo:[0,0,1] neg_hi:[0,0,1]
	v_mov_b32_e32 v13, v9
	v_pk_add_f32 v[4:5], v[4:5], v[12:13]
	s_andn2_b64 exec, exec, s[8:9]
	s_cbranch_execnz .LBB8_4
; %bb.5:
	s_or_b64 exec, exec, s[8:9]
.LBB8_6:
	s_or_b64 exec, exec, s[6:7]
	v_mbcnt_lo_u32_b32 v1, -1, 0
	v_mbcnt_hi_u32_b32 v1, -1, v1
	v_and_b32_e32 v3, 63, v1
	v_cmp_ne_u32_e32 vcc, 63, v3
	s_nop 1
	v_addc_co_u32_e32 v6, vcc, 0, v1, vcc
	v_lshlrev_b32_e32 v7, 2, v6
	ds_bpermute_b32 v6, v7, v4
	ds_bpermute_b32 v7, v7, v5
	v_cmp_gt_u32_e32 vcc, 62, v3
	s_waitcnt lgkmcnt(0)
	v_pk_add_f32 v[4:5], v[4:5], v[6:7]
	v_cndmask_b32_e64 v8, 0, 2, vcc
	v_add_lshl_u32 v8, v8, v1, 2
	ds_bpermute_b32 v6, v8, v4
	ds_bpermute_b32 v7, v8, v5
	v_cmp_gt_u32_e32 vcc, 60, v3
	s_waitcnt lgkmcnt(0)
	v_pk_add_f32 v[4:5], v[4:5], v[6:7]
	v_cndmask_b32_e64 v6, 0, 4, vcc
	v_add_lshl_u32 v7, v6, v1, 2
	;; [unrolled: 7-line block ×4, first 2 shown]
	ds_bpermute_b32 v6, v3, v4
	ds_bpermute_b32 v7, v3, v5
	v_mov_b32_e32 v3, 0x80
	v_lshl_or_b32 v1, v1, 2, v3
	s_waitcnt lgkmcnt(0)
	v_pk_add_f32 v[4:5], v[4:5], v[6:7]
	ds_bpermute_b32 v6, v1, v4
	ds_bpermute_b32 v7, v1, v5
	v_and_b32_e32 v1, 63, v0
	v_cmp_eq_u32_e32 vcc, 0, v1
	s_waitcnt lgkmcnt(0)
	v_pk_add_f32 v[4:5], v[4:5], v[6:7]
	s_and_saveexec_b64 s[6:7], vcc
; %bb.7:
	v_lshrrev_b32_e32 v1, 3, v0
	ds_write_b64 v1, v[4:5]
; %bb.8:
	s_or_b64 exec, exec, s[6:7]
	v_cmp_eq_u32_e32 vcc, 0, v0
	s_waitcnt lgkmcnt(0)
	s_barrier
	s_and_saveexec_b64 s[6:7], vcc
	s_cbranch_execz .LBB8_10
; %bb.9:
	v_mov_b32_e32 v1, 0
	ds_read2_b64 v[6:9], v1 offset0:1 offset1:2
	ds_read2_b64 v[10:13], v1 offset0:3 offset1:4
	;; [unrolled: 1-line block ×3, first 2 shown]
	s_waitcnt lgkmcnt(2)
	v_pk_add_f32 v[4:5], v[4:5], v[6:7]
	s_nop 0
	v_pk_add_f32 v[4:5], v[4:5], v[8:9]
	ds_read_b64 v[6:7], v1 offset:56
	s_waitcnt lgkmcnt(2)
	v_pk_add_f32 v[4:5], v[4:5], v[10:11]
	s_nop 0
	v_pk_add_f32 v[4:5], v[4:5], v[12:13]
	s_waitcnt lgkmcnt(1)
	v_pk_add_f32 v[4:5], v[4:5], v[14:15]
	s_nop 0
	v_pk_add_f32 v[4:5], v[4:5], v[16:17]
	s_waitcnt lgkmcnt(0)
	v_pk_add_f32 v[4:5], v[4:5], v[6:7]
	ds_write_b64 v1, v[4:5]
.LBB8_10:
	s_or_b64 exec, exec, s[6:7]
	s_waitcnt lgkmcnt(0)
	s_barrier
	s_and_saveexec_b64 s[16:17], vcc
	s_cbranch_execz .LBB8_16
; %bb.11:
	s_lshl_b64 s[6:7], s[14:15], 3
	s_add_u32 s14, s4, s6
	s_addc_u32 s15, s5, s7
	v_mov_b64_e32 v[4:5], s[14:15]
	flat_load_dword v1, v[4:5] offset:4
	s_load_dwordx4 s[4:7], s[0:1], 0x58
	v_mov_b32_e32 v5, 0
	ds_read_b32 v4, v5
	s_mov_b64 s[20:21], 0
	s_waitcnt lgkmcnt(0)
	s_mul_i32 s1, s6, s19
	s_mul_hi_u32 s8, s6, s18
	s_mul_i32 s7, s7, s18
	s_add_i32 s1, s8, s1
	s_mul_i32 s0, s6, s18
	s_add_i32 s1, s1, s7
	s_lshl_b64 s[0:1], s[0:1], 3
	s_add_u32 s18, s4, s0
	s_addc_u32 s19, s5, s1
	v_max_f32_e32 v6, v4, v4
	s_cmp_lg_u64 s[12:13], 0
	s_cselect_b64 s[0:1], -1, 0
	s_waitcnt vmcnt(0)
	v_mul_f32_e32 v3, v1, v1
	v_max_f32_e32 v6, v6, v3
	v_cmp_nlt_f32_e32 vcc, 0, v6
	s_and_saveexec_b64 s[4:5], vcc
	s_xor_b64 s[4:5], exec, s[4:5]
	s_cbranch_execz .LBB8_20
; %bb.12:
	v_mov_b32_e32 v4, 1.0
	v_mov_b32_e32 v6, v5
	v_mov_b32_e32 v7, v5
	s_and_b64 vcc, exec, s[0:1]
	ds_write_b64 v5, v[4:5]
	global_store_dwordx2 v5, v[6:7], s[18:19]
	s_cbranch_vccz .LBB8_25
; %bb.13:
	v_mov_b64_e32 v[6:7], s[14:15]
	flat_load_dword v1, v[6:7]
	v_mov_b32_e32 v3, 0
	s_mov_b64 s[6:7], -1
	s_waitcnt vmcnt(0) lgkmcnt(0)
	global_store_dword v3, v1, s[12:13]
	flat_store_dword v[6:7], v4
	s_and_b64 s[20:21], s[6:7], exec
                                        ; implicit-def: $vgpr3
                                        ; implicit-def: $vgpr4
                                        ; implicit-def: $vgpr1
	s_andn2_saveexec_b64 s[22:23], s[4:5]
	s_cbranch_execnz .LBB8_21
.LBB8_14:
	s_or_b64 exec, exec, s[22:23]
	s_and_b64 exec, exec, s[20:21]
	s_cbranch_execz .LBB8_16
.LBB8_15:
	v_mov_b32_e32 v1, 0
	v_mov_b64_e32 v[4:5], s[14:15]
	flat_store_dword v[4:5], v1 offset:4
.LBB8_16:
	s_or_b64 exec, exec, s[16:17]
	s_waitcnt lgkmcnt(0)
	s_barrier
	s_and_saveexec_b64 s[0:1], s[2:3]
	s_cbranch_execz .LBB8_19
; %bb.17:
	v_mov_b32_e32 v1, 0
	ds_read_b64 v[4:5], v1
	s_lshl_b32 s2, s25, 9
	s_mov_b64 s[0:1], 0
	s_waitcnt lgkmcnt(0)
	v_mov_b32_e32 v6, v5
	v_mov_b32_e32 v7, v4
.LBB8_18:                               ; =>This Inner Loop Header: Depth=1
	v_ashrrev_i32_e32 v3, 31, v2
	v_lshl_add_u64 v[8:9], v[2:3], 3, s[10:11]
	flat_load_dwordx2 v[10:11], v[8:9]
	v_add_u32_e32 v0, 0x200, v0
	v_cmp_le_i32_e32 vcc, s24, v0
	s_or_b64 s[0:1], vcc, s[0:1]
	v_add_u32_e32 v2, s2, v2
	s_waitcnt vmcnt(0) lgkmcnt(0)
	v_pk_mul_f32 v[12:13], v[6:7], v[10:11] op_sel:[0,1]
	s_nop 0
	v_pk_fma_f32 v[14:15], v[4:5], v[10:11], v[12:13] neg_lo:[0,0,1] neg_hi:[0,0,1]
	v_pk_fma_f32 v[10:11], v[4:5], v[10:11], v[12:13] op_sel_hi:[1,0,1]
	s_nop 0
	v_mov_b32_e32 v15, v11
	flat_store_dwordx2 v[8:9], v[14:15]
	s_andn2_b64 exec, exec, s[0:1]
	s_cbranch_execnz .LBB8_18
.LBB8_19:
	s_endpgm
.LBB8_20:
	s_andn2_saveexec_b64 s[22:23], s[4:5]
	s_cbranch_execz .LBB8_14
.LBB8_21:
	v_mov_b64_e32 v[6:7], s[14:15]
	flat_load_dword v6, v[6:7]
	s_mov_b32 s4, 0xf800000
	v_mov_b32_e32 v8, 0x260
	s_and_b64 s[0:1], exec, s[0:1]
	s_waitcnt vmcnt(0) lgkmcnt(0)
	v_fma_f32 v5, v6, v6, v3
	v_add_f32_e32 v4, v4, v5
	v_mul_f32_e32 v5, 0x4f800000, v4
	v_cmp_gt_f32_e32 vcc, s4, v4
	s_nop 1
	v_cndmask_b32_e32 v5, v4, v5, vcc
	v_sqrt_f32_e32 v7, v5
	v_mov_b32_e32 v4, 0
	v_add_u32_e32 v9, -1, v7
	v_add_u32_e32 v10, 1, v7
	v_fma_f32 v11, -v9, v7, v5
	v_fma_f32 v12, -v10, v7, v5
	v_cmp_ge_f32_e64 s[4:5], 0, v11
	s_nop 1
	v_cndmask_b32_e64 v7, v7, v9, s[4:5]
	v_cmp_lt_f32_e64 s[4:5], 0, v12
	s_nop 1
	v_cndmask_b32_e64 v7, v7, v10, s[4:5]
	v_mul_f32_e32 v9, 0x37800000, v7
	v_cndmask_b32_e32 v7, v7, v9, vcc
	v_cmp_class_f32_e32 vcc, v5, v8
	s_nop 1
	v_cndmask_b32_e32 v5, v7, v5, vcc
	v_cmp_le_f32_e32 vcc, 0, v6
	s_nop 1
	v_cndmask_b32_e64 v5, v5, -v5, vcc
	v_sub_f32_e32 v7, v6, v5
	v_sub_f32_e32 v8, v5, v6
	v_div_scale_f32 v6, s[4:5], v5, v5, -v1
	v_fmac_f32_e32 v3, v7, v7
	v_div_scale_f32 v10, s[6:7], v5, v5, v8
	v_rcp_f32_e32 v12, v6
	v_div_scale_f32 v13, s[8:9], v3, v3, v7
	v_div_scale_f32 v15, s[8:9], v3, v3, -v1
	v_rcp_f32_e32 v17, v10
	v_rcp_f32_e32 v18, v13
	v_rcp_f32_e32 v19, v15
	v_fma_f32 v20, -v6, v12, 1.0
	v_div_scale_f32 v9, s[4:5], -v1, v5, -v1
	v_fma_f32 v21, -v10, v17, 1.0
	v_fmac_f32_e32 v12, v20, v12
	v_fma_f32 v20, -v13, v18, 1.0
	v_div_scale_f32 v14, vcc, v7, v3, v7
	v_fma_f32 v22, -v15, v19, 1.0
	v_fmac_f32_e32 v17, v21, v17
	v_mul_f32_e32 v21, v9, v12
	v_fmac_f32_e32 v18, v20, v18
	v_div_scale_f32 v11, s[6:7], v8, v5, v8
	v_div_scale_f32 v16, s[8:9], -v1, v3, -v1
	v_fmac_f32_e32 v19, v22, v19
	v_fma_f32 v22, -v6, v21, v9
	v_mul_f32_e32 v23, v14, v18
	v_mul_f32_e32 v20, v11, v17
	;; [unrolled: 1-line block ×3, first 2 shown]
	v_fmac_f32_e32 v21, v22, v12
	v_fma_f32 v22, -v13, v23, v14
	v_fma_f32 v25, -v10, v20, v11
	;; [unrolled: 1-line block ×3, first 2 shown]
	v_fmac_f32_e32 v23, v22, v18
	v_fmac_f32_e32 v20, v25, v17
	v_fma_f32 v9, -v6, v21, v9
	v_fmac_f32_e32 v24, v26, v19
	v_fma_f32 v6, -v13, v23, v14
	v_fma_f32 v10, -v10, v20, v11
	;; [unrolled: 1-line block ×3, first 2 shown]
	v_div_fmas_f32 v6, v6, v18, v23
	s_mov_b64 vcc, s[8:9]
	v_div_fixup_f32 v6, v6, v3, v7
	v_div_fmas_f32 v7, v11, v19, v24
	s_mov_b64 vcc, s[6:7]
	v_div_fixup_f32 v7, v7, v3, -v1
	v_div_fmas_f32 v3, v10, v17, v20
	s_mov_b64 vcc, s[4:5]
	ds_write_b64 v4, v[6:7]
	v_div_fixup_f32 v6, v3, v5, v8
	v_div_fmas_f32 v3, v9, v12, v21
	v_div_fixup_f32 v7, v3, v5, -v1
	s_mov_b64 vcc, s[0:1]
	global_store_dwordx2 v4, v[6:7], s[18:19]
	s_cbranch_vccz .LBB8_26
; %bb.22:
	v_mov_b32_e32 v1, 1.0
	v_mov_b64_e32 v[6:7], s[14:15]
	global_store_dword v4, v5, s[12:13]
	flat_store_dword v[6:7], v1
	s_cbranch_execnz .LBB8_24
.LBB8_23:
	v_mov_b64_e32 v[6:7], s[14:15]
	flat_store_dword v[6:7], v5
.LBB8_24:
	s_or_b64 s[20:21], s[20:21], exec
	s_or_b64 exec, exec, s[22:23]
	s_and_b64 exec, exec, s[20:21]
	s_cbranch_execnz .LBB8_15
	s_branch .LBB8_16
.LBB8_25:
	s_mov_b64 s[6:7], 0
	s_and_b64 s[20:21], s[6:7], exec
                                        ; implicit-def: $vgpr3
                                        ; implicit-def: $vgpr4
                                        ; implicit-def: $vgpr1
	s_andn2_saveexec_b64 s[22:23], s[4:5]
	s_cbranch_execz .LBB8_14
	s_branch .LBB8_21
.LBB8_26:
	s_branch .LBB8_23
	.section	.rodata,"a",@progbits
	.p2align	6, 0x0
	.amdhsa_kernel _ZN9rocsolver6v33100L18larfg_kernel_smallILi512E19rocblas_complex_numIfEifPKPS3_EEvT1_T3_llPT2_llS8_lS7_lPT0_l
		.amdhsa_group_segment_fixed_size 64
		.amdhsa_private_segment_fixed_size 0
		.amdhsa_kernarg_size 104
		.amdhsa_user_sgpr_count 2
		.amdhsa_user_sgpr_dispatch_ptr 0
		.amdhsa_user_sgpr_queue_ptr 0
		.amdhsa_user_sgpr_kernarg_segment_ptr 1
		.amdhsa_user_sgpr_dispatch_id 0
		.amdhsa_user_sgpr_kernarg_preload_length 0
		.amdhsa_user_sgpr_kernarg_preload_offset 0
		.amdhsa_user_sgpr_private_segment_size 0
		.amdhsa_uses_dynamic_stack 0
		.amdhsa_enable_private_segment 0
		.amdhsa_system_sgpr_workgroup_id_x 1
		.amdhsa_system_sgpr_workgroup_id_y 0
		.amdhsa_system_sgpr_workgroup_id_z 1
		.amdhsa_system_sgpr_workgroup_info 0
		.amdhsa_system_vgpr_workitem_id 0
		.amdhsa_next_free_vgpr 27
		.amdhsa_next_free_sgpr 26
		.amdhsa_accum_offset 28
		.amdhsa_reserve_vcc 1
		.amdhsa_float_round_mode_32 0
		.amdhsa_float_round_mode_16_64 0
		.amdhsa_float_denorm_mode_32 3
		.amdhsa_float_denorm_mode_16_64 3
		.amdhsa_dx10_clamp 1
		.amdhsa_ieee_mode 1
		.amdhsa_fp16_overflow 0
		.amdhsa_tg_split 0
		.amdhsa_exception_fp_ieee_invalid_op 0
		.amdhsa_exception_fp_denorm_src 0
		.amdhsa_exception_fp_ieee_div_zero 0
		.amdhsa_exception_fp_ieee_overflow 0
		.amdhsa_exception_fp_ieee_underflow 0
		.amdhsa_exception_fp_ieee_inexact 0
		.amdhsa_exception_int_div_zero 0
	.end_amdhsa_kernel
	.section	.text._ZN9rocsolver6v33100L18larfg_kernel_smallILi512E19rocblas_complex_numIfEifPKPS3_EEvT1_T3_llPT2_llS8_lS7_lPT0_l,"axG",@progbits,_ZN9rocsolver6v33100L18larfg_kernel_smallILi512E19rocblas_complex_numIfEifPKPS3_EEvT1_T3_llPT2_llS8_lS7_lPT0_l,comdat
.Lfunc_end8:
	.size	_ZN9rocsolver6v33100L18larfg_kernel_smallILi512E19rocblas_complex_numIfEifPKPS3_EEvT1_T3_llPT2_llS8_lS7_lPT0_l, .Lfunc_end8-_ZN9rocsolver6v33100L18larfg_kernel_smallILi512E19rocblas_complex_numIfEifPKPS3_EEvT1_T3_llPT2_llS8_lS7_lPT0_l
                                        ; -- End function
	.set _ZN9rocsolver6v33100L18larfg_kernel_smallILi512E19rocblas_complex_numIfEifPKPS3_EEvT1_T3_llPT2_llS8_lS7_lPT0_l.num_vgpr, 27
	.set _ZN9rocsolver6v33100L18larfg_kernel_smallILi512E19rocblas_complex_numIfEifPKPS3_EEvT1_T3_llPT2_llS8_lS7_lPT0_l.num_agpr, 0
	.set _ZN9rocsolver6v33100L18larfg_kernel_smallILi512E19rocblas_complex_numIfEifPKPS3_EEvT1_T3_llPT2_llS8_lS7_lPT0_l.numbered_sgpr, 26
	.set _ZN9rocsolver6v33100L18larfg_kernel_smallILi512E19rocblas_complex_numIfEifPKPS3_EEvT1_T3_llPT2_llS8_lS7_lPT0_l.num_named_barrier, 0
	.set _ZN9rocsolver6v33100L18larfg_kernel_smallILi512E19rocblas_complex_numIfEifPKPS3_EEvT1_T3_llPT2_llS8_lS7_lPT0_l.private_seg_size, 0
	.set _ZN9rocsolver6v33100L18larfg_kernel_smallILi512E19rocblas_complex_numIfEifPKPS3_EEvT1_T3_llPT2_llS8_lS7_lPT0_l.uses_vcc, 1
	.set _ZN9rocsolver6v33100L18larfg_kernel_smallILi512E19rocblas_complex_numIfEifPKPS3_EEvT1_T3_llPT2_llS8_lS7_lPT0_l.uses_flat_scratch, 0
	.set _ZN9rocsolver6v33100L18larfg_kernel_smallILi512E19rocblas_complex_numIfEifPKPS3_EEvT1_T3_llPT2_llS8_lS7_lPT0_l.has_dyn_sized_stack, 0
	.set _ZN9rocsolver6v33100L18larfg_kernel_smallILi512E19rocblas_complex_numIfEifPKPS3_EEvT1_T3_llPT2_llS8_lS7_lPT0_l.has_recursion, 0
	.set _ZN9rocsolver6v33100L18larfg_kernel_smallILi512E19rocblas_complex_numIfEifPKPS3_EEvT1_T3_llPT2_llS8_lS7_lPT0_l.has_indirect_call, 0
	.section	.AMDGPU.csdata,"",@progbits
; Kernel info:
; codeLenInByte = 1824
; TotalNumSgprs: 32
; NumVgprs: 27
; NumAgprs: 0
; TotalNumVgprs: 27
; ScratchSize: 0
; MemoryBound: 0
; FloatMode: 240
; IeeeMode: 1
; LDSByteSize: 64 bytes/workgroup (compile time only)
; SGPRBlocks: 3
; VGPRBlocks: 3
; NumSGPRsForWavesPerEU: 32
; NumVGPRsForWavesPerEU: 27
; AccumOffset: 28
; Occupancy: 8
; WaveLimiterHint : 1
; COMPUTE_PGM_RSRC2:SCRATCH_EN: 0
; COMPUTE_PGM_RSRC2:USER_SGPR: 2
; COMPUTE_PGM_RSRC2:TRAP_HANDLER: 0
; COMPUTE_PGM_RSRC2:TGID_X_EN: 1
; COMPUTE_PGM_RSRC2:TGID_Y_EN: 0
; COMPUTE_PGM_RSRC2:TGID_Z_EN: 1
; COMPUTE_PGM_RSRC2:TIDIG_COMP_CNT: 0
; COMPUTE_PGM_RSRC3_GFX90A:ACCUM_OFFSET: 6
; COMPUTE_PGM_RSRC3_GFX90A:TG_SPLIT: 0
	.section	.text._ZN9rocsolver6v33100L18larfg_kernel_smallILi1024E19rocblas_complex_numIfEifPKPS3_EEvT1_T3_llPT2_llS8_lS7_lPT0_l,"axG",@progbits,_ZN9rocsolver6v33100L18larfg_kernel_smallILi1024E19rocblas_complex_numIfEifPKPS3_EEvT1_T3_llPT2_llS8_lS7_lPT0_l,comdat
	.globl	_ZN9rocsolver6v33100L18larfg_kernel_smallILi1024E19rocblas_complex_numIfEifPKPS3_EEvT1_T3_llPT2_llS8_lS7_lPT0_l ; -- Begin function _ZN9rocsolver6v33100L18larfg_kernel_smallILi1024E19rocblas_complex_numIfEifPKPS3_EEvT1_T3_llPT2_llS8_lS7_lPT0_l
	.p2align	8
	.type	_ZN9rocsolver6v33100L18larfg_kernel_smallILi1024E19rocblas_complex_numIfEifPKPS3_EEvT1_T3_llPT2_llS8_lS7_lPT0_l,@function
_ZN9rocsolver6v33100L18larfg_kernel_smallILi1024E19rocblas_complex_numIfEifPKPS3_EEvT1_T3_llPT2_llS8_lS7_lPT0_l: ; @_ZN9rocsolver6v33100L18larfg_kernel_smallILi1024E19rocblas_complex_numIfEifPKPS3_EEvT1_T3_llPT2_llS8_lS7_lPT0_l
; %bb.0:
	s_mov_b32 s16, s3
	s_load_dwordx4 s[12:15], s[0:1], 0x8
	s_load_dwordx8 s[4:11], s[0:1], 0x20
	s_load_dwordx2 s[2:3], s[0:1], 0x40
	s_ashr_i32 s17, s16, 31
	s_lshl_b64 s[20:21], s[16:17], 3
	s_waitcnt lgkmcnt(0)
	s_add_u32 s18, s12, s20
	s_addc_u32 s19, s13, s21
	s_add_u32 s10, s10, s20
	s_addc_u32 s11, s11, s21
	s_load_dwordx2 s[10:11], s[10:11], 0x0
	s_cmp_eq_u64 s[4:5], 0
	s_mov_b64 s[12:13], 0
	s_cbranch_scc1 .LBB9_2
; %bb.1:
	s_mul_i32 s12, s8, s17
	s_mul_hi_u32 s13, s8, s16
	s_add_i32 s12, s13, s12
	s_mul_i32 s9, s9, s16
	s_add_i32 s9, s12, s9
	s_mul_i32 s8, s8, s16
	s_lshl_b64 s[8:9], s[8:9], 2
	s_add_u32 s8, s4, s8
	s_addc_u32 s9, s5, s9
	s_lshl_b64 s[4:5], s[6:7], 2
	s_add_u32 s12, s8, s4
	s_addc_u32 s13, s9, s5
.LBB9_2:
	s_load_dwordx2 s[4:5], s[18:19], 0x0
	s_load_dword s24, s[0:1], 0x0
	s_load_dword s25, s[0:1], 0x48
	s_lshl_b64 s[2:3], s[2:3], 3
	s_waitcnt lgkmcnt(0)
	s_add_u32 s10, s10, s2
	s_addc_u32 s11, s11, s3
	s_add_i32 s24, s24, -1
	v_cmp_gt_i32_e64 s[2:3], s24, v0
	v_mov_b32_e32 v7, 0
	v_mul_lo_u32 v2, v0, s25
	v_mov_b32_e32 v6, 0
	s_and_saveexec_b64 s[6:7], s[2:3]
	s_cbranch_execz .LBB9_6
; %bb.3:
	v_mov_b32_e32 v4, 0
	v_mul_lo_u32 v6, v0, s25
	s_lshl_b32 s18, s25, 10
	s_mov_b64 s[8:9], 0
	v_mov_b32_e32 v1, v0
	v_mov_b32_e32 v5, v4
.LBB9_4:                                ; =>This Inner Loop Header: Depth=1
	v_ashrrev_i32_e32 v7, 31, v6
	v_lshl_add_u64 v[8:9], v[6:7], 3, s[10:11]
	flat_load_dwordx2 v[8:9], v[8:9]
	v_add_u32_e32 v1, 0x400, v1
	v_cmp_le_i32_e32 vcc, s24, v1
	s_or_b64 s[8:9], vcc, s[8:9]
	v_add_u32_e32 v6, s18, v6
	s_waitcnt vmcnt(0) lgkmcnt(0)
	v_pk_mul_f32 v[10:11], v[8:9], v[8:9] op_sel:[0,1] op_sel_hi:[0,0]
	v_pk_fma_f32 v[12:13], v[8:9], v[8:9], v[10:11] op_sel:[1,0,0] neg_lo:[0,0,1] neg_hi:[0,0,1]
	v_pk_fma_f32 v[8:9], v[8:9], v[8:9], v[10:11] op_sel:[1,0,0]
	s_nop 0
	v_mov_b32_e32 v13, v9
	v_pk_add_f32 v[4:5], v[4:5], v[12:13]
	s_andn2_b64 exec, exec, s[8:9]
	s_cbranch_execnz .LBB9_4
; %bb.5:
	s_or_b64 exec, exec, s[8:9]
	v_mov_b32_e32 v7, v4
	v_mov_b32_e32 v6, v5
.LBB9_6:
	s_or_b64 exec, exec, s[6:7]
	v_mbcnt_lo_u32_b32 v1, -1, 0
	v_mbcnt_hi_u32_b32 v1, -1, v1
	v_and_b32_e32 v3, 63, v1
	v_cmp_ne_u32_e32 vcc, 63, v3
	s_nop 1
	v_addc_co_u32_e32 v4, vcc, 0, v1, vcc
	v_lshlrev_b32_e32 v5, 2, v4
	ds_bpermute_b32 v4, v5, v6
	ds_bpermute_b32 v5, v5, v7
	v_cmp_gt_u32_e32 vcc, 62, v3
	s_waitcnt lgkmcnt(0)
	v_pk_add_f32 v[4:5], v[6:7], v[4:5]
	v_cndmask_b32_e64 v8, 0, 2, vcc
	v_add_lshl_u32 v8, v8, v1, 2
	ds_bpermute_b32 v6, v8, v4
	ds_bpermute_b32 v7, v8, v5
	v_cmp_gt_u32_e32 vcc, 60, v3
	s_waitcnt lgkmcnt(0)
	v_pk_add_f32 v[4:5], v[4:5], v[6:7]
	v_cndmask_b32_e64 v8, 0, 4, vcc
	v_add_lshl_u32 v8, v8, v1, 2
	;; [unrolled: 7-line block ×4, first 2 shown]
	ds_bpermute_b32 v6, v3, v4
	ds_bpermute_b32 v7, v3, v5
	v_mov_b32_e32 v3, 0x80
	v_lshl_or_b32 v1, v1, 2, v3
	s_waitcnt lgkmcnt(0)
	v_pk_add_f32 v[4:5], v[4:5], v[6:7]
	ds_bpermute_b32 v6, v1, v4
	ds_bpermute_b32 v7, v1, v5
	v_and_b32_e32 v1, 63, v0
	v_cmp_eq_u32_e32 vcc, 0, v1
	s_waitcnt lgkmcnt(0)
	v_pk_add_f32 v[4:5], v[4:5], v[6:7]
	s_and_saveexec_b64 s[6:7], vcc
; %bb.7:
	v_lshrrev_b32_e32 v1, 3, v0
	ds_write_b64 v1, v[4:5]
; %bb.8:
	s_or_b64 exec, exec, s[6:7]
	v_cmp_eq_u32_e32 vcc, 0, v0
	s_waitcnt lgkmcnt(0)
	s_barrier
	s_and_saveexec_b64 s[6:7], vcc
	s_cbranch_execz .LBB9_10
; %bb.9:
	v_mov_b32_e32 v1, 0
	ds_read2_b64 v[6:9], v1 offset0:1 offset1:2
	ds_read2_b64 v[10:13], v1 offset0:3 offset1:4
	ds_read2_b64 v[14:17], v1 offset0:5 offset1:6
	ds_read2_b64 v[18:21], v1 offset0:7 offset1:8
	ds_read2_b64 v[22:25], v1 offset0:9 offset1:10
	s_waitcnt lgkmcnt(4)
	v_pk_add_f32 v[4:5], v[4:5], v[6:7]
	s_nop 0
	v_pk_add_f32 v[4:5], v[4:5], v[8:9]
	s_waitcnt lgkmcnt(3)
	v_pk_add_f32 v[4:5], v[4:5], v[10:11]
	s_nop 0
	v_pk_add_f32 v[4:5], v[4:5], v[12:13]
	s_waitcnt lgkmcnt(2)
	v_pk_add_f32 v[4:5], v[4:5], v[14:15]
	ds_read_b64 v[14:15], v1 offset:120
	v_pk_add_f32 v[4:5], v[4:5], v[16:17]
	s_waitcnt lgkmcnt(2)
	v_pk_add_f32 v[4:5], v[4:5], v[18:19]
	s_nop 0
	v_pk_add_f32 v[8:9], v[4:5], v[20:21]
	ds_read2_b64 v[4:7], v1 offset0:11 offset1:12
	s_waitcnt lgkmcnt(2)
	v_pk_add_f32 v[12:13], v[8:9], v[22:23]
	ds_read2_b64 v[8:11], v1 offset0:13 offset1:14
	v_pk_add_f32 v[12:13], v[12:13], v[24:25]
	s_waitcnt lgkmcnt(1)
	v_pk_add_f32 v[4:5], v[12:13], v[4:5]
	s_nop 0
	v_pk_add_f32 v[4:5], v[4:5], v[6:7]
	s_waitcnt lgkmcnt(0)
	v_pk_add_f32 v[4:5], v[4:5], v[8:9]
	s_nop 0
	v_pk_add_f32 v[4:5], v[4:5], v[10:11]
	s_nop 0
	v_pk_add_f32 v[4:5], v[4:5], v[14:15]
	ds_write_b64 v1, v[4:5]
.LBB9_10:
	s_or_b64 exec, exec, s[6:7]
	s_waitcnt lgkmcnt(0)
	s_barrier
	s_and_saveexec_b64 s[18:19], vcc
	s_cbranch_execz .LBB9_16
; %bb.11:
	s_lshl_b64 s[6:7], s[14:15], 3
	s_add_u32 s14, s4, s6
	s_addc_u32 s15, s5, s7
	v_mov_b64_e32 v[4:5], s[14:15]
	flat_load_dword v1, v[4:5] offset:4
	s_load_dwordx4 s[4:7], s[0:1], 0x58
	v_mov_b32_e32 v5, 0
	ds_read_b32 v4, v5
	s_mov_b64 s[20:21], 0
	s_waitcnt lgkmcnt(0)
	s_mul_i32 s1, s6, s17
	s_mul_hi_u32 s8, s6, s16
	s_mul_i32 s7, s7, s16
	s_add_i32 s1, s8, s1
	s_mul_i32 s0, s6, s16
	s_add_i32 s1, s1, s7
	s_lshl_b64 s[0:1], s[0:1], 3
	s_add_u32 s16, s4, s0
	s_addc_u32 s17, s5, s1
	v_max_f32_e32 v6, v4, v4
	s_cmp_lg_u64 s[12:13], 0
	s_cselect_b64 s[0:1], -1, 0
	s_waitcnt vmcnt(0)
	v_mul_f32_e32 v3, v1, v1
	v_max_f32_e32 v6, v6, v3
	v_cmp_nlt_f32_e32 vcc, 0, v6
	s_and_saveexec_b64 s[4:5], vcc
	s_xor_b64 s[4:5], exec, s[4:5]
	s_cbranch_execz .LBB9_20
; %bb.12:
	v_mov_b32_e32 v4, 1.0
	v_mov_b32_e32 v6, v5
	v_mov_b32_e32 v7, v5
	s_and_b64 vcc, exec, s[0:1]
	ds_write_b64 v5, v[4:5]
	global_store_dwordx2 v5, v[6:7], s[16:17]
	s_cbranch_vccz .LBB9_25
; %bb.13:
	v_mov_b64_e32 v[6:7], s[14:15]
	flat_load_dword v1, v[6:7]
	v_mov_b32_e32 v3, 0
	s_mov_b64 s[6:7], -1
	s_waitcnt vmcnt(0) lgkmcnt(0)
	global_store_dword v3, v1, s[12:13]
	flat_store_dword v[6:7], v4
	s_and_b64 s[20:21], s[6:7], exec
                                        ; implicit-def: $vgpr3
                                        ; implicit-def: $vgpr4
                                        ; implicit-def: $vgpr1
	s_andn2_saveexec_b64 s[22:23], s[4:5]
	s_cbranch_execnz .LBB9_21
.LBB9_14:
	s_or_b64 exec, exec, s[22:23]
	s_and_b64 exec, exec, s[20:21]
	s_cbranch_execz .LBB9_16
.LBB9_15:
	v_mov_b32_e32 v1, 0
	v_mov_b64_e32 v[4:5], s[14:15]
	flat_store_dword v[4:5], v1 offset:4
.LBB9_16:
	s_or_b64 exec, exec, s[18:19]
	s_waitcnt lgkmcnt(0)
	s_barrier
	s_and_saveexec_b64 s[0:1], s[2:3]
	s_cbranch_execz .LBB9_19
; %bb.17:
	v_mov_b32_e32 v1, 0
	ds_read_b64 v[4:5], v1
	s_lshl_b32 s2, s25, 10
	s_mov_b64 s[0:1], 0
	s_waitcnt lgkmcnt(0)
	v_mov_b32_e32 v6, v5
	v_mov_b32_e32 v7, v4
.LBB9_18:                               ; =>This Inner Loop Header: Depth=1
	v_ashrrev_i32_e32 v3, 31, v2
	v_lshl_add_u64 v[8:9], v[2:3], 3, s[10:11]
	flat_load_dwordx2 v[10:11], v[8:9]
	v_add_u32_e32 v0, 0x400, v0
	v_cmp_le_i32_e32 vcc, s24, v0
	s_or_b64 s[0:1], vcc, s[0:1]
	v_add_u32_e32 v2, s2, v2
	s_waitcnt vmcnt(0) lgkmcnt(0)
	v_pk_mul_f32 v[12:13], v[6:7], v[10:11] op_sel:[0,1]
	s_nop 0
	v_pk_fma_f32 v[14:15], v[4:5], v[10:11], v[12:13] neg_lo:[0,0,1] neg_hi:[0,0,1]
	v_pk_fma_f32 v[10:11], v[4:5], v[10:11], v[12:13] op_sel_hi:[1,0,1]
	s_nop 0
	v_mov_b32_e32 v15, v11
	flat_store_dwordx2 v[8:9], v[14:15]
	s_andn2_b64 exec, exec, s[0:1]
	s_cbranch_execnz .LBB9_18
.LBB9_19:
	s_endpgm
.LBB9_20:
	s_andn2_saveexec_b64 s[22:23], s[4:5]
	s_cbranch_execz .LBB9_14
.LBB9_21:
	v_mov_b64_e32 v[6:7], s[14:15]
	flat_load_dword v6, v[6:7]
	s_mov_b32 s4, 0xf800000
	v_mov_b32_e32 v8, 0x260
	s_and_b64 s[0:1], exec, s[0:1]
	s_waitcnt vmcnt(0) lgkmcnt(0)
	v_fma_f32 v5, v6, v6, v3
	v_add_f32_e32 v4, v4, v5
	v_mul_f32_e32 v5, 0x4f800000, v4
	v_cmp_gt_f32_e32 vcc, s4, v4
	s_nop 1
	v_cndmask_b32_e32 v5, v4, v5, vcc
	v_sqrt_f32_e32 v7, v5
	v_mov_b32_e32 v4, 0
	v_add_u32_e32 v9, -1, v7
	v_add_u32_e32 v10, 1, v7
	v_fma_f32 v11, -v9, v7, v5
	v_fma_f32 v12, -v10, v7, v5
	v_cmp_ge_f32_e64 s[4:5], 0, v11
	s_nop 1
	v_cndmask_b32_e64 v7, v7, v9, s[4:5]
	v_cmp_lt_f32_e64 s[4:5], 0, v12
	s_nop 1
	v_cndmask_b32_e64 v7, v7, v10, s[4:5]
	v_mul_f32_e32 v9, 0x37800000, v7
	v_cndmask_b32_e32 v7, v7, v9, vcc
	v_cmp_class_f32_e32 vcc, v5, v8
	s_nop 1
	v_cndmask_b32_e32 v5, v7, v5, vcc
	v_cmp_le_f32_e32 vcc, 0, v6
	s_nop 1
	v_cndmask_b32_e64 v5, v5, -v5, vcc
	v_sub_f32_e32 v7, v6, v5
	v_sub_f32_e32 v8, v5, v6
	v_div_scale_f32 v6, s[4:5], v5, v5, -v1
	v_fmac_f32_e32 v3, v7, v7
	v_div_scale_f32 v10, s[6:7], v5, v5, v8
	v_rcp_f32_e32 v12, v6
	v_div_scale_f32 v13, s[8:9], v3, v3, v7
	v_div_scale_f32 v15, s[8:9], v3, v3, -v1
	v_rcp_f32_e32 v17, v10
	v_rcp_f32_e32 v18, v13
	v_rcp_f32_e32 v19, v15
	v_fma_f32 v20, -v6, v12, 1.0
	v_div_scale_f32 v9, s[4:5], -v1, v5, -v1
	v_fma_f32 v21, -v10, v17, 1.0
	v_fmac_f32_e32 v12, v20, v12
	v_fma_f32 v20, -v13, v18, 1.0
	v_div_scale_f32 v14, vcc, v7, v3, v7
	v_fma_f32 v22, -v15, v19, 1.0
	v_fmac_f32_e32 v17, v21, v17
	v_mul_f32_e32 v21, v9, v12
	v_fmac_f32_e32 v18, v20, v18
	v_div_scale_f32 v11, s[6:7], v8, v5, v8
	v_div_scale_f32 v16, s[8:9], -v1, v3, -v1
	v_fmac_f32_e32 v19, v22, v19
	v_fma_f32 v22, -v6, v21, v9
	v_mul_f32_e32 v23, v14, v18
	v_mul_f32_e32 v20, v11, v17
	v_mul_f32_e32 v24, v16, v19
	v_fmac_f32_e32 v21, v22, v12
	v_fma_f32 v22, -v13, v23, v14
	v_fma_f32 v25, -v10, v20, v11
	;; [unrolled: 1-line block ×3, first 2 shown]
	v_fmac_f32_e32 v23, v22, v18
	v_fmac_f32_e32 v20, v25, v17
	v_fma_f32 v9, -v6, v21, v9
	v_fmac_f32_e32 v24, v26, v19
	v_fma_f32 v6, -v13, v23, v14
	v_fma_f32 v10, -v10, v20, v11
	;; [unrolled: 1-line block ×3, first 2 shown]
	v_div_fmas_f32 v6, v6, v18, v23
	s_mov_b64 vcc, s[8:9]
	v_div_fixup_f32 v6, v6, v3, v7
	v_div_fmas_f32 v7, v11, v19, v24
	s_mov_b64 vcc, s[6:7]
	v_div_fixup_f32 v7, v7, v3, -v1
	v_div_fmas_f32 v3, v10, v17, v20
	s_mov_b64 vcc, s[4:5]
	ds_write_b64 v4, v[6:7]
	v_div_fixup_f32 v6, v3, v5, v8
	v_div_fmas_f32 v3, v9, v12, v21
	v_div_fixup_f32 v7, v3, v5, -v1
	s_mov_b64 vcc, s[0:1]
	global_store_dwordx2 v4, v[6:7], s[16:17]
	s_cbranch_vccz .LBB9_26
; %bb.22:
	v_mov_b32_e32 v1, 1.0
	v_mov_b64_e32 v[6:7], s[14:15]
	global_store_dword v4, v5, s[12:13]
	flat_store_dword v[6:7], v1
	s_cbranch_execnz .LBB9_24
.LBB9_23:
	v_mov_b64_e32 v[6:7], s[14:15]
	flat_store_dword v[6:7], v5
.LBB9_24:
	s_or_b64 s[20:21], s[20:21], exec
	s_or_b64 exec, exec, s[22:23]
	s_and_b64 exec, exec, s[20:21]
	s_cbranch_execnz .LBB9_15
	s_branch .LBB9_16
.LBB9_25:
	s_mov_b64 s[6:7], 0
	s_and_b64 s[20:21], s[6:7], exec
                                        ; implicit-def: $vgpr3
                                        ; implicit-def: $vgpr4
                                        ; implicit-def: $vgpr1
	s_andn2_saveexec_b64 s[22:23], s[4:5]
	s_cbranch_execz .LBB9_14
	s_branch .LBB9_21
.LBB9_26:
	s_branch .LBB9_23
	.section	.rodata,"a",@progbits
	.p2align	6, 0x0
	.amdhsa_kernel _ZN9rocsolver6v33100L18larfg_kernel_smallILi1024E19rocblas_complex_numIfEifPKPS3_EEvT1_T3_llPT2_llS8_lS7_lPT0_l
		.amdhsa_group_segment_fixed_size 128
		.amdhsa_private_segment_fixed_size 0
		.amdhsa_kernarg_size 104
		.amdhsa_user_sgpr_count 2
		.amdhsa_user_sgpr_dispatch_ptr 0
		.amdhsa_user_sgpr_queue_ptr 0
		.amdhsa_user_sgpr_kernarg_segment_ptr 1
		.amdhsa_user_sgpr_dispatch_id 0
		.amdhsa_user_sgpr_kernarg_preload_length 0
		.amdhsa_user_sgpr_kernarg_preload_offset 0
		.amdhsa_user_sgpr_private_segment_size 0
		.amdhsa_uses_dynamic_stack 0
		.amdhsa_enable_private_segment 0
		.amdhsa_system_sgpr_workgroup_id_x 1
		.amdhsa_system_sgpr_workgroup_id_y 0
		.amdhsa_system_sgpr_workgroup_id_z 1
		.amdhsa_system_sgpr_workgroup_info 0
		.amdhsa_system_vgpr_workitem_id 0
		.amdhsa_next_free_vgpr 27
		.amdhsa_next_free_sgpr 26
		.amdhsa_accum_offset 28
		.amdhsa_reserve_vcc 1
		.amdhsa_float_round_mode_32 0
		.amdhsa_float_round_mode_16_64 0
		.amdhsa_float_denorm_mode_32 3
		.amdhsa_float_denorm_mode_16_64 3
		.amdhsa_dx10_clamp 1
		.amdhsa_ieee_mode 1
		.amdhsa_fp16_overflow 0
		.amdhsa_tg_split 0
		.amdhsa_exception_fp_ieee_invalid_op 0
		.amdhsa_exception_fp_denorm_src 0
		.amdhsa_exception_fp_ieee_div_zero 0
		.amdhsa_exception_fp_ieee_overflow 0
		.amdhsa_exception_fp_ieee_underflow 0
		.amdhsa_exception_fp_ieee_inexact 0
		.amdhsa_exception_int_div_zero 0
	.end_amdhsa_kernel
	.section	.text._ZN9rocsolver6v33100L18larfg_kernel_smallILi1024E19rocblas_complex_numIfEifPKPS3_EEvT1_T3_llPT2_llS8_lS7_lPT0_l,"axG",@progbits,_ZN9rocsolver6v33100L18larfg_kernel_smallILi1024E19rocblas_complex_numIfEifPKPS3_EEvT1_T3_llPT2_llS8_lS7_lPT0_l,comdat
.Lfunc_end9:
	.size	_ZN9rocsolver6v33100L18larfg_kernel_smallILi1024E19rocblas_complex_numIfEifPKPS3_EEvT1_T3_llPT2_llS8_lS7_lPT0_l, .Lfunc_end9-_ZN9rocsolver6v33100L18larfg_kernel_smallILi1024E19rocblas_complex_numIfEifPKPS3_EEvT1_T3_llPT2_llS8_lS7_lPT0_l
                                        ; -- End function
	.set _ZN9rocsolver6v33100L18larfg_kernel_smallILi1024E19rocblas_complex_numIfEifPKPS3_EEvT1_T3_llPT2_llS8_lS7_lPT0_l.num_vgpr, 27
	.set _ZN9rocsolver6v33100L18larfg_kernel_smallILi1024E19rocblas_complex_numIfEifPKPS3_EEvT1_T3_llPT2_llS8_lS7_lPT0_l.num_agpr, 0
	.set _ZN9rocsolver6v33100L18larfg_kernel_smallILi1024E19rocblas_complex_numIfEifPKPS3_EEvT1_T3_llPT2_llS8_lS7_lPT0_l.numbered_sgpr, 26
	.set _ZN9rocsolver6v33100L18larfg_kernel_smallILi1024E19rocblas_complex_numIfEifPKPS3_EEvT1_T3_llPT2_llS8_lS7_lPT0_l.num_named_barrier, 0
	.set _ZN9rocsolver6v33100L18larfg_kernel_smallILi1024E19rocblas_complex_numIfEifPKPS3_EEvT1_T3_llPT2_llS8_lS7_lPT0_l.private_seg_size, 0
	.set _ZN9rocsolver6v33100L18larfg_kernel_smallILi1024E19rocblas_complex_numIfEifPKPS3_EEvT1_T3_llPT2_llS8_lS7_lPT0_l.uses_vcc, 1
	.set _ZN9rocsolver6v33100L18larfg_kernel_smallILi1024E19rocblas_complex_numIfEifPKPS3_EEvT1_T3_llPT2_llS8_lS7_lPT0_l.uses_flat_scratch, 0
	.set _ZN9rocsolver6v33100L18larfg_kernel_smallILi1024E19rocblas_complex_numIfEifPKPS3_EEvT1_T3_llPT2_llS8_lS7_lPT0_l.has_dyn_sized_stack, 0
	.set _ZN9rocsolver6v33100L18larfg_kernel_smallILi1024E19rocblas_complex_numIfEifPKPS3_EEvT1_T3_llPT2_llS8_lS7_lPT0_l.has_recursion, 0
	.set _ZN9rocsolver6v33100L18larfg_kernel_smallILi1024E19rocblas_complex_numIfEifPKPS3_EEvT1_T3_llPT2_llS8_lS7_lPT0_l.has_indirect_call, 0
	.section	.AMDGPU.csdata,"",@progbits
; Kernel info:
; codeLenInByte = 1956
; TotalNumSgprs: 32
; NumVgprs: 27
; NumAgprs: 0
; TotalNumVgprs: 27
; ScratchSize: 0
; MemoryBound: 0
; FloatMode: 240
; IeeeMode: 1
; LDSByteSize: 128 bytes/workgroup (compile time only)
; SGPRBlocks: 3
; VGPRBlocks: 3
; NumSGPRsForWavesPerEU: 32
; NumVGPRsForWavesPerEU: 27
; AccumOffset: 28
; Occupancy: 8
; WaveLimiterHint : 1
; COMPUTE_PGM_RSRC2:SCRATCH_EN: 0
; COMPUTE_PGM_RSRC2:USER_SGPR: 2
; COMPUTE_PGM_RSRC2:TRAP_HANDLER: 0
; COMPUTE_PGM_RSRC2:TGID_X_EN: 1
; COMPUTE_PGM_RSRC2:TGID_Y_EN: 0
; COMPUTE_PGM_RSRC2:TGID_Z_EN: 1
; COMPUTE_PGM_RSRC2:TIDIG_COMP_CNT: 0
; COMPUTE_PGM_RSRC3_GFX90A:ACCUM_OFFSET: 6
; COMPUTE_PGM_RSRC3_GFX90A:TG_SPLIT: 0
	.section	.text._ZN9rocsolver6v33100L18larfg_kernel_smallILi64E19rocblas_complex_numIfElfPS3_EEvT1_T3_llPT2_llS6_lS5_lPT0_l,"axG",@progbits,_ZN9rocsolver6v33100L18larfg_kernel_smallILi64E19rocblas_complex_numIfElfPS3_EEvT1_T3_llPT2_llS6_lS5_lPT0_l,comdat
	.globl	_ZN9rocsolver6v33100L18larfg_kernel_smallILi64E19rocblas_complex_numIfElfPS3_EEvT1_T3_llPT2_llS6_lS5_lPT0_l ; -- Begin function _ZN9rocsolver6v33100L18larfg_kernel_smallILi64E19rocblas_complex_numIfElfPS3_EEvT1_T3_llPT2_llS6_lS5_lPT0_l
	.p2align	8
	.type	_ZN9rocsolver6v33100L18larfg_kernel_smallILi64E19rocblas_complex_numIfElfPS3_EEvT1_T3_llPT2_llS6_lS5_lPT0_l,@function
_ZN9rocsolver6v33100L18larfg_kernel_smallILi64E19rocblas_complex_numIfElfPS3_EEvT1_T3_llPT2_llS6_lS5_lPT0_l: ; @_ZN9rocsolver6v33100L18larfg_kernel_smallILi64E19rocblas_complex_numIfElfPS3_EEvT1_T3_llPT2_llS6_lS5_lPT0_l
; %bb.0:
	s_load_dwordx16 s[4:19], s[0:1], 0x0
	s_mov_b64 s[28:29], 0
	s_waitcnt lgkmcnt(0)
	s_cmp_eq_u64 s[12:13], 0
	s_cbranch_scc1 .LBB10_2
; %bb.1:
	s_mul_i32 s2, s17, s3
	s_mul_hi_u32 s17, s16, s3
	s_add_i32 s17, s17, s2
	s_mul_i32 s16, s16, s3
	s_lshl_b64 s[16:17], s[16:17], 2
	s_add_u32 s2, s12, s16
	s_addc_u32 s16, s13, s17
	s_lshl_b64 s[12:13], s[14:15], 2
	s_add_u32 s28, s2, s12
	s_addc_u32 s29, s16, s13
.LBB10_2:
	s_load_dwordx8 s[20:27], s[0:1], 0x40
	s_load_dwordx2 s[30:31], s[0:1], 0x60
	s_add_u32 s12, s4, -1
	v_mov_b32_e32 v1, 0
	s_addc_u32 s13, s5, -1
	v_cmp_gt_i64_e64 s[0:1], s[12:13], v[0:1]
	s_waitcnt lgkmcnt(0)
	s_mul_i32 s33, s25, s3
	s_mul_hi_u32 s34, s24, s3
	s_mul_i32 s14, s24, s3
	v_mov_b32_e32 v3, v1
	v_mov_b32_e32 v2, v1
	s_and_saveexec_b64 s[4:5], s[0:1]
	s_cbranch_execz .LBB10_6
; %bb.3:
	v_mad_u64_u32 v[2:3], s[24:25], s22, v0, 0
	v_mov_b32_e32 v4, v3
	s_add_i32 s15, s34, s33
	v_mad_u64_u32 v[4:5], s[24:25], s23, v0, v[4:5]
	s_lshl_b64 s[16:17], s[14:15], 3
	s_lshl_b64 s[24:25], s[20:21], 3
	s_add_u32 s2, s18, s24
	s_addc_u32 s15, s19, s25
	s_add_u32 s16, s2, s16
	v_mov_b32_e32 v3, v4
	s_addc_u32 s17, s15, s17
	v_lshl_add_u64 v[4:5], v[2:3], 3, s[16:17]
	v_mov_b32_e32 v2, 0
	s_lshl_b64 s[16:17], s[22:23], 9
	s_mov_b64 s[24:25], 0
	v_mov_b64_e32 v[6:7], v[0:1]
	v_mov_b32_e32 v3, v2
.LBB10_4:                               ; =>This Inner Loop Header: Depth=1
	global_load_dwordx2 v[8:9], v[4:5], off
	v_lshl_add_u64 v[6:7], v[6:7], 0, 64
	v_cmp_le_i64_e32 vcc, s[12:13], v[6:7]
	v_lshl_add_u64 v[4:5], v[4:5], 0, s[16:17]
	s_or_b64 s[24:25], vcc, s[24:25]
	s_waitcnt vmcnt(0)
	v_pk_mul_f32 v[10:11], v[8:9], v[8:9] op_sel:[1,1] op_sel_hi:[0,1]
	v_pk_fma_f32 v[12:13], v[8:9], v[8:9], v[10:11]
	v_pk_fma_f32 v[8:9], v[8:9], v[8:9], v[10:11] op_sel_hi:[0,1,1] neg_lo:[0,0,1] neg_hi:[0,0,1]
	v_mov_b32_e32 v13, v9
	v_pk_add_f32 v[2:3], v[2:3], v[12:13]
	s_andn2_b64 exec, exec, s[24:25]
	s_cbranch_execnz .LBB10_4
; %bb.5:
	s_or_b64 exec, exec, s[24:25]
.LBB10_6:
	s_or_b64 exec, exec, s[4:5]
	v_mbcnt_lo_u32_b32 v4, -1, 0
	v_mbcnt_hi_u32_b32 v6, -1, v4
	v_and_b32_e32 v7, 63, v6
	v_cmp_ne_u32_e32 vcc, 63, v7
	s_nop 1
	v_addc_co_u32_e32 v4, vcc, 0, v6, vcc
	v_lshlrev_b32_e32 v5, 2, v4
	ds_bpermute_b32 v4, v5, v2
	ds_bpermute_b32 v5, v5, v3
	v_cmp_gt_u32_e32 vcc, 62, v7
	s_waitcnt lgkmcnt(0)
	v_pk_add_f32 v[2:3], v[2:3], v[4:5]
	v_cndmask_b32_e64 v8, 0, 2, vcc
	v_add_lshl_u32 v8, v8, v6, 2
	ds_bpermute_b32 v4, v8, v2
	ds_bpermute_b32 v5, v8, v3
	v_cmp_gt_u32_e32 vcc, 60, v7
	s_waitcnt lgkmcnt(0)
	v_pk_add_f32 v[2:3], v[2:3], v[4:5]
	v_cndmask_b32_e64 v8, 0, 4, vcc
	v_add_lshl_u32 v8, v8, v6, 2
	;; [unrolled: 7-line block ×4, first 2 shown]
	ds_bpermute_b32 v4, v7, v2
	ds_bpermute_b32 v5, v7, v3
	v_mov_b32_e32 v7, 0x80
	v_lshl_or_b32 v6, v6, 2, v7
	v_cmp_eq_u32_e32 vcc, 0, v0
	s_waitcnt lgkmcnt(0)
	v_pk_add_f32 v[2:3], v[2:3], v[4:5]
	ds_bpermute_b32 v4, v6, v2
	ds_bpermute_b32 v5, v6, v3
	s_waitcnt lgkmcnt(0)
	v_pk_add_f32 v[2:3], v[2:3], v[4:5]
	s_and_saveexec_b64 s[4:5], vcc
; %bb.7:
	v_lshrrev_b32_e32 v4, 3, v0
	ds_write2_b32 v4, v2, v3 offset1:1
; %bb.8:
	s_or_b64 exec, exec, s[4:5]
	v_cmp_eq_u32_e32 vcc, 0, v0
	s_waitcnt lgkmcnt(0)
	; wave barrier
	s_and_saveexec_b64 s[4:5], vcc
; %bb.9:
	v_mov_b32_e32 v4, 0
	ds_write_b64 v4, v[2:3]
; %bb.10:
	s_or_b64 exec, exec, s[4:5]
	s_waitcnt lgkmcnt(0)
	; wave barrier
	s_and_saveexec_b64 s[16:17], vcc
	s_cbranch_execz .LBB10_21
; %bb.11:
	s_mul_i32 s2, s11, s3
	s_mul_hi_u32 s4, s10, s3
	s_add_i32 s5, s4, s2
	s_mul_i32 s4, s10, s3
	s_lshl_b64 s[4:5], s[4:5], 3
	s_add_u32 s2, s6, s4
	s_addc_u32 s6, s7, s5
	s_lshl_b64 s[4:5], s[8:9], 3
	s_add_u32 s10, s2, s4
	s_addc_u32 s11, s6, s5
	v_mov_b32_e32 v3, 0
	s_load_dword s15, s[10:11], 0x4
	ds_read_b32 v5, v3
	s_mul_i32 s2, s31, s3
	s_mul_hi_u32 s4, s30, s3
	s_add_i32 s5, s4, s2
	s_mul_i32 s4, s30, s3
	s_lshl_b64 s[2:3], s[4:5], 3
	s_add_u32 s24, s26, s2
	s_waitcnt lgkmcnt(0)
	v_mul_f32_e64 v4, s15, s15
	v_max_f32_e32 v2, v5, v5
	s_addc_u32 s25, s27, s3
	v_max_f32_e32 v2, v2, v4
	s_cmp_lg_u64 s[28:29], 0
	v_cmp_nlt_f32_e32 vcc, 0, v2
	s_mov_b64 s[4:5], 0
	s_cselect_b64 s[2:3], -1, 0
	s_mov_b64 s[6:7], -1
	s_cbranch_vccz .LBB10_14
; %bb.12:
	v_mov_b32_e32 v2, 1.0
	v_mov_b32_e32 v6, v3
	v_mov_b32_e32 v7, v3
	s_mov_b64 s[6:7], 0
	s_and_b64 vcc, exec, s[2:3]
	ds_write_b64 v3, v[2:3]
	global_store_dwordx2 v3, v[6:7], s[24:25]
	s_cbranch_vccz .LBB10_14
; %bb.13:
	v_mov_b32_e32 v3, 0
	global_load_dword v6, v3, s[10:11]
	s_mov_b64 s[4:5], -1
	s_waitcnt vmcnt(0)
	global_store_dword v3, v6, s[28:29]
	global_store_dword v3, v2, s[10:11]
.LBB10_14:
	s_and_b64 vcc, exec, s[6:7]
	s_cbranch_vccz .LBB10_19
; %bb.15:
	v_mov_b32_e32 v2, 0
	global_load_dword v6, v2, s[10:11]
	s_mov_b32 s4, 0xf800000
	v_mov_b32_e32 v7, 0x260
	s_and_b64 s[2:3], exec, s[2:3]
	s_waitcnt vmcnt(0)
	v_fma_f32 v3, v6, v6, v4
	v_add_f32_e32 v3, v5, v3
	v_mul_f32_e32 v5, 0x4f800000, v3
	v_cmp_gt_f32_e32 vcc, s4, v3
	s_nop 1
	v_cndmask_b32_e32 v3, v3, v5, vcc
	v_sqrt_f32_e32 v5, v3
	s_nop 0
	v_add_u32_e32 v8, -1, v5
	v_add_u32_e32 v9, 1, v5
	v_fma_f32 v10, -v8, v5, v3
	v_fma_f32 v11, -v9, v5, v3
	v_cmp_ge_f32_e64 s[4:5], 0, v10
	s_nop 1
	v_cndmask_b32_e64 v5, v5, v8, s[4:5]
	v_cmp_lt_f32_e64 s[4:5], 0, v11
	s_nop 1
	v_cndmask_b32_e64 v5, v5, v9, s[4:5]
	v_mul_f32_e32 v8, 0x37800000, v5
	v_cndmask_b32_e32 v5, v5, v8, vcc
	v_cmp_class_f32_e32 vcc, v3, v7
	s_nop 1
	v_cndmask_b32_e32 v3, v5, v3, vcc
	v_cmp_le_f32_e32 vcc, 0, v6
	s_nop 1
	v_cndmask_b32_e64 v3, v3, -v3, vcc
	v_sub_f32_e32 v5, v6, v3
	v_sub_f32_e32 v8, v3, v6
	v_div_scale_f32 v6, s[4:5], v3, v3, -s15
	v_fmac_f32_e32 v4, v5, v5
	v_div_scale_f32 v9, s[6:7], v3, v3, v8
	v_rcp_f32_e32 v11, v6
	v_div_scale_f32 v12, s[8:9], v4, v4, v5
	v_div_scale_f32 v14, s[8:9], v4, v4, -s15
	v_rcp_f32_e32 v16, v9
	v_rcp_f32_e32 v17, v12
	;; [unrolled: 1-line block ×3, first 2 shown]
	v_fma_f32 v19, -v6, v11, 1.0
	v_div_scale_f32 v7, s[4:5], -s15, v3, -s15
	v_fma_f32 v20, -v9, v16, 1.0
	v_fmac_f32_e32 v11, v19, v11
	v_fma_f32 v19, -v12, v17, 1.0
	v_div_scale_f32 v13, vcc, v5, v4, v5
	v_fma_f32 v21, -v14, v18, 1.0
	v_fmac_f32_e32 v16, v20, v16
	v_mul_f32_e32 v20, v7, v11
	v_fmac_f32_e32 v17, v19, v17
	v_div_scale_f32 v10, s[6:7], v8, v3, v8
	v_div_scale_f32 v15, s[8:9], -s15, v4, -s15
	v_fmac_f32_e32 v18, v21, v18
	v_fma_f32 v21, -v6, v20, v7
	v_mul_f32_e32 v22, v13, v17
	v_mul_f32_e32 v19, v10, v16
	;; [unrolled: 1-line block ×3, first 2 shown]
	v_fmac_f32_e32 v20, v21, v11
	v_fma_f32 v21, -v12, v22, v13
	v_fma_f32 v24, -v9, v19, v10
	;; [unrolled: 1-line block ×3, first 2 shown]
	v_fmac_f32_e32 v22, v21, v17
	v_fmac_f32_e32 v19, v24, v16
	v_fma_f32 v24, -v6, v20, v7
	v_fmac_f32_e32 v23, v25, v18
	v_fma_f32 v6, -v12, v22, v13
	v_fma_f32 v7, -v14, v23, v15
	v_div_fmas_f32 v6, v6, v17, v22
	s_mov_b64 vcc, s[8:9]
	v_fma_f32 v9, -v9, v19, v10
	v_div_fixup_f32 v6, v6, v4, v5
	v_div_fmas_f32 v5, v7, v18, v23
	s_mov_b64 vcc, s[6:7]
	v_div_fixup_f32 v7, v5, v4, -s15
	v_div_fmas_f32 v4, v9, v16, v19
	s_mov_b64 vcc, s[4:5]
	v_div_fmas_f32 v5, v24, v11, v20
	v_div_fixup_f32 v4, v4, v3, v8
	v_div_fixup_f32 v5, v5, v3, -s15
	s_mov_b64 vcc, s[2:3]
	ds_write_b64 v2, v[6:7]
	global_store_dwordx2 v2, v[4:5], s[24:25]
	s_cbranch_vccz .LBB10_25
; %bb.16:
	v_mov_b32_e32 v4, 1.0
	global_store_dword v2, v3, s[28:29]
	global_store_dword v2, v4, s[10:11]
	s_cbranch_execnz .LBB10_18
.LBB10_17:
	v_mov_b32_e32 v2, 0
	global_store_dword v2, v3, s[10:11]
.LBB10_18:
	s_mov_b64 s[4:5], -1
.LBB10_19:
	s_andn2_b64 vcc, exec, s[4:5]
	s_cbranch_vccnz .LBB10_21
; %bb.20:
	v_mov_b32_e32 v2, 0
	global_store_dword v2, v2, s[10:11] offset:4
.LBB10_21:
	s_or_b64 exec, exec, s[16:17]
	s_waitcnt lgkmcnt(0)
	; wave barrier
	s_and_saveexec_b64 s[2:3], s[0:1]
	s_cbranch_execz .LBB10_24
; %bb.22:
	v_mad_u64_u32 v[6:7], s[2:3], s22, v0, 0
	v_mov_b32_e32 v8, v7
	s_add_i32 s15, s34, s33
	v_mad_u64_u32 v[8:9], s[2:3], s23, v0, v[8:9]
	v_mov_b32_e32 v2, 0
	s_lshl_b64 s[0:1], s[14:15], 3
	s_lshl_b64 s[2:3], s[20:21], 3
	ds_read_b64 v[2:3], v2
	s_add_u32 s2, s18, s2
	s_addc_u32 s3, s19, s3
	s_add_u32 s0, s2, s0
	v_mov_b32_e32 v7, v8
	s_addc_u32 s1, s3, s1
	v_lshl_add_u64 v[6:7], v[6:7], 3, s[0:1]
	s_waitcnt lgkmcnt(0)
	v_mov_b32_e32 v4, v3
	v_mov_b32_e32 v5, v2
	v_lshl_add_u64 v[6:7], v[6:7], 0, 4
	s_lshl_b64 s[0:1], s[22:23], 9
	s_mov_b64 s[2:3], 0
.LBB10_23:                              ; =>This Inner Loop Header: Depth=1
	global_load_dwordx2 v[8:9], v[6:7], off offset:-4
	v_lshl_add_u64 v[0:1], v[0:1], 0, 64
	v_cmp_le_i64_e32 vcc, s[12:13], v[0:1]
	s_or_b64 s[2:3], vcc, s[2:3]
	s_waitcnt vmcnt(0)
	v_pk_mul_f32 v[10:11], v[4:5], v[8:9] op_sel:[0,1]
	s_nop 0
	v_pk_fma_f32 v[12:13], v[2:3], v[8:9], v[10:11] neg_lo:[0,0,1] neg_hi:[0,0,1]
	v_pk_fma_f32 v[8:9], v[2:3], v[8:9], v[10:11] op_sel_hi:[1,0,1]
	s_nop 0
	v_mov_b32_e32 v13, v9
	global_store_dwordx2 v[6:7], v[12:13], off offset:-4
	v_lshl_add_u64 v[6:7], v[6:7], 0, s[0:1]
	s_andn2_b64 exec, exec, s[2:3]
	s_cbranch_execnz .LBB10_23
.LBB10_24:
	s_endpgm
.LBB10_25:
	s_branch .LBB10_17
	.section	.rodata,"a",@progbits
	.p2align	6, 0x0
	.amdhsa_kernel _ZN9rocsolver6v33100L18larfg_kernel_smallILi64E19rocblas_complex_numIfElfPS3_EEvT1_T3_llPT2_llS6_lS5_lPT0_l
		.amdhsa_group_segment_fixed_size 8
		.amdhsa_private_segment_fixed_size 0
		.amdhsa_kernarg_size 104
		.amdhsa_user_sgpr_count 2
		.amdhsa_user_sgpr_dispatch_ptr 0
		.amdhsa_user_sgpr_queue_ptr 0
		.amdhsa_user_sgpr_kernarg_segment_ptr 1
		.amdhsa_user_sgpr_dispatch_id 0
		.amdhsa_user_sgpr_kernarg_preload_length 0
		.amdhsa_user_sgpr_kernarg_preload_offset 0
		.amdhsa_user_sgpr_private_segment_size 0
		.amdhsa_uses_dynamic_stack 0
		.amdhsa_enable_private_segment 0
		.amdhsa_system_sgpr_workgroup_id_x 1
		.amdhsa_system_sgpr_workgroup_id_y 0
		.amdhsa_system_sgpr_workgroup_id_z 1
		.amdhsa_system_sgpr_workgroup_info 0
		.amdhsa_system_vgpr_workitem_id 0
		.amdhsa_next_free_vgpr 26
		.amdhsa_next_free_sgpr 35
		.amdhsa_accum_offset 28
		.amdhsa_reserve_vcc 1
		.amdhsa_float_round_mode_32 0
		.amdhsa_float_round_mode_16_64 0
		.amdhsa_float_denorm_mode_32 3
		.amdhsa_float_denorm_mode_16_64 3
		.amdhsa_dx10_clamp 1
		.amdhsa_ieee_mode 1
		.amdhsa_fp16_overflow 0
		.amdhsa_tg_split 0
		.amdhsa_exception_fp_ieee_invalid_op 0
		.amdhsa_exception_fp_denorm_src 0
		.amdhsa_exception_fp_ieee_div_zero 0
		.amdhsa_exception_fp_ieee_overflow 0
		.amdhsa_exception_fp_ieee_underflow 0
		.amdhsa_exception_fp_ieee_inexact 0
		.amdhsa_exception_int_div_zero 0
	.end_amdhsa_kernel
	.section	.text._ZN9rocsolver6v33100L18larfg_kernel_smallILi64E19rocblas_complex_numIfElfPS3_EEvT1_T3_llPT2_llS6_lS5_lPT0_l,"axG",@progbits,_ZN9rocsolver6v33100L18larfg_kernel_smallILi64E19rocblas_complex_numIfElfPS3_EEvT1_T3_llPT2_llS6_lS5_lPT0_l,comdat
.Lfunc_end10:
	.size	_ZN9rocsolver6v33100L18larfg_kernel_smallILi64E19rocblas_complex_numIfElfPS3_EEvT1_T3_llPT2_llS6_lS5_lPT0_l, .Lfunc_end10-_ZN9rocsolver6v33100L18larfg_kernel_smallILi64E19rocblas_complex_numIfElfPS3_EEvT1_T3_llPT2_llS6_lS5_lPT0_l
                                        ; -- End function
	.set _ZN9rocsolver6v33100L18larfg_kernel_smallILi64E19rocblas_complex_numIfElfPS3_EEvT1_T3_llPT2_llS6_lS5_lPT0_l.num_vgpr, 26
	.set _ZN9rocsolver6v33100L18larfg_kernel_smallILi64E19rocblas_complex_numIfElfPS3_EEvT1_T3_llPT2_llS6_lS5_lPT0_l.num_agpr, 0
	.set _ZN9rocsolver6v33100L18larfg_kernel_smallILi64E19rocblas_complex_numIfElfPS3_EEvT1_T3_llPT2_llS6_lS5_lPT0_l.numbered_sgpr, 35
	.set _ZN9rocsolver6v33100L18larfg_kernel_smallILi64E19rocblas_complex_numIfElfPS3_EEvT1_T3_llPT2_llS6_lS5_lPT0_l.num_named_barrier, 0
	.set _ZN9rocsolver6v33100L18larfg_kernel_smallILi64E19rocblas_complex_numIfElfPS3_EEvT1_T3_llPT2_llS6_lS5_lPT0_l.private_seg_size, 0
	.set _ZN9rocsolver6v33100L18larfg_kernel_smallILi64E19rocblas_complex_numIfElfPS3_EEvT1_T3_llPT2_llS6_lS5_lPT0_l.uses_vcc, 1
	.set _ZN9rocsolver6v33100L18larfg_kernel_smallILi64E19rocblas_complex_numIfElfPS3_EEvT1_T3_llPT2_llS6_lS5_lPT0_l.uses_flat_scratch, 0
	.set _ZN9rocsolver6v33100L18larfg_kernel_smallILi64E19rocblas_complex_numIfElfPS3_EEvT1_T3_llPT2_llS6_lS5_lPT0_l.has_dyn_sized_stack, 0
	.set _ZN9rocsolver6v33100L18larfg_kernel_smallILi64E19rocblas_complex_numIfElfPS3_EEvT1_T3_llPT2_llS6_lS5_lPT0_l.has_recursion, 0
	.set _ZN9rocsolver6v33100L18larfg_kernel_smallILi64E19rocblas_complex_numIfElfPS3_EEvT1_T3_llPT2_llS6_lS5_lPT0_l.has_indirect_call, 0
	.section	.AMDGPU.csdata,"",@progbits
; Kernel info:
; codeLenInByte = 1668
; TotalNumSgprs: 41
; NumVgprs: 26
; NumAgprs: 0
; TotalNumVgprs: 26
; ScratchSize: 0
; MemoryBound: 0
; FloatMode: 240
; IeeeMode: 1
; LDSByteSize: 8 bytes/workgroup (compile time only)
; SGPRBlocks: 5
; VGPRBlocks: 3
; NumSGPRsForWavesPerEU: 41
; NumVGPRsForWavesPerEU: 26
; AccumOffset: 28
; Occupancy: 8
; WaveLimiterHint : 0
; COMPUTE_PGM_RSRC2:SCRATCH_EN: 0
; COMPUTE_PGM_RSRC2:USER_SGPR: 2
; COMPUTE_PGM_RSRC2:TRAP_HANDLER: 0
; COMPUTE_PGM_RSRC2:TGID_X_EN: 1
; COMPUTE_PGM_RSRC2:TGID_Y_EN: 0
; COMPUTE_PGM_RSRC2:TGID_Z_EN: 1
; COMPUTE_PGM_RSRC2:TIDIG_COMP_CNT: 0
; COMPUTE_PGM_RSRC3_GFX90A:ACCUM_OFFSET: 6
; COMPUTE_PGM_RSRC3_GFX90A:TG_SPLIT: 0
	.section	.text._ZN9rocsolver6v33100L18larfg_kernel_smallILi128E19rocblas_complex_numIfElfPS3_EEvT1_T3_llPT2_llS6_lS5_lPT0_l,"axG",@progbits,_ZN9rocsolver6v33100L18larfg_kernel_smallILi128E19rocblas_complex_numIfElfPS3_EEvT1_T3_llPT2_llS6_lS5_lPT0_l,comdat
	.globl	_ZN9rocsolver6v33100L18larfg_kernel_smallILi128E19rocblas_complex_numIfElfPS3_EEvT1_T3_llPT2_llS6_lS5_lPT0_l ; -- Begin function _ZN9rocsolver6v33100L18larfg_kernel_smallILi128E19rocblas_complex_numIfElfPS3_EEvT1_T3_llPT2_llS6_lS5_lPT0_l
	.p2align	8
	.type	_ZN9rocsolver6v33100L18larfg_kernel_smallILi128E19rocblas_complex_numIfElfPS3_EEvT1_T3_llPT2_llS6_lS5_lPT0_l,@function
_ZN9rocsolver6v33100L18larfg_kernel_smallILi128E19rocblas_complex_numIfElfPS3_EEvT1_T3_llPT2_llS6_lS5_lPT0_l: ; @_ZN9rocsolver6v33100L18larfg_kernel_smallILi128E19rocblas_complex_numIfElfPS3_EEvT1_T3_llPT2_llS6_lS5_lPT0_l
; %bb.0:
	s_load_dwordx16 s[4:19], s[0:1], 0x0
	s_mov_b64 s[28:29], 0
	s_waitcnt lgkmcnt(0)
	s_cmp_eq_u64 s[12:13], 0
	s_cbranch_scc1 .LBB11_2
; %bb.1:
	s_mul_i32 s2, s17, s3
	s_mul_hi_u32 s17, s16, s3
	s_add_i32 s17, s17, s2
	s_mul_i32 s16, s16, s3
	s_lshl_b64 s[16:17], s[16:17], 2
	s_add_u32 s2, s12, s16
	s_addc_u32 s16, s13, s17
	s_lshl_b64 s[12:13], s[14:15], 2
	s_add_u32 s28, s2, s12
	s_addc_u32 s29, s16, s13
.LBB11_2:
	s_load_dwordx8 s[20:27], s[0:1], 0x40
	s_load_dwordx2 s[30:31], s[0:1], 0x60
	s_add_u32 s12, s4, -1
	v_mov_b32_e32 v1, 0
	s_addc_u32 s13, s5, -1
	v_cmp_gt_i64_e64 s[0:1], s[12:13], v[0:1]
	s_waitcnt lgkmcnt(0)
	s_mul_i32 s33, s25, s3
	s_mul_hi_u32 s36, s24, s3
	s_mul_i32 s14, s24, s3
	v_mov_b32_e32 v3, v1
	v_mov_b32_e32 v2, v1
	s_and_saveexec_b64 s[4:5], s[0:1]
	s_cbranch_execz .LBB11_6
; %bb.3:
	v_mad_u64_u32 v[2:3], s[24:25], s22, v0, 0
	v_mov_b32_e32 v4, v3
	s_add_i32 s15, s36, s33
	v_mad_u64_u32 v[4:5], s[24:25], s23, v0, v[4:5]
	s_lshl_b64 s[16:17], s[14:15], 3
	s_lshl_b64 s[24:25], s[20:21], 3
	s_add_u32 s2, s18, s24
	s_addc_u32 s15, s19, s25
	s_add_u32 s16, s2, s16
	v_mov_b32_e32 v3, v4
	s_addc_u32 s17, s15, s17
	v_lshl_add_u64 v[4:5], v[2:3], 3, s[16:17]
	v_mov_b32_e32 v2, 0
	s_lshl_b64 s[16:17], s[22:23], 10
	s_mov_b64 s[24:25], 0
	s_mov_b64 s[34:35], 0x80
	v_mov_b64_e32 v[6:7], v[0:1]
	v_mov_b32_e32 v3, v2
.LBB11_4:                               ; =>This Inner Loop Header: Depth=1
	global_load_dwordx2 v[8:9], v[4:5], off
	v_lshl_add_u64 v[6:7], v[6:7], 0, s[34:35]
	v_cmp_le_i64_e32 vcc, s[12:13], v[6:7]
	v_lshl_add_u64 v[4:5], v[4:5], 0, s[16:17]
	s_or_b64 s[24:25], vcc, s[24:25]
	s_waitcnt vmcnt(0)
	v_pk_mul_f32 v[10:11], v[8:9], v[8:9] op_sel:[1,1] op_sel_hi:[0,1]
	v_pk_fma_f32 v[12:13], v[8:9], v[8:9], v[10:11]
	v_pk_fma_f32 v[8:9], v[8:9], v[8:9], v[10:11] op_sel_hi:[0,1,1] neg_lo:[0,0,1] neg_hi:[0,0,1]
	v_mov_b32_e32 v13, v9
	v_pk_add_f32 v[2:3], v[2:3], v[12:13]
	s_andn2_b64 exec, exec, s[24:25]
	s_cbranch_execnz .LBB11_4
; %bb.5:
	s_or_b64 exec, exec, s[24:25]
.LBB11_6:
	s_or_b64 exec, exec, s[4:5]
	v_mbcnt_lo_u32_b32 v4, -1, 0
	v_mbcnt_hi_u32_b32 v6, -1, v4
	v_and_b32_e32 v7, 63, v6
	v_cmp_ne_u32_e32 vcc, 63, v7
	s_nop 1
	v_addc_co_u32_e32 v4, vcc, 0, v6, vcc
	v_lshlrev_b32_e32 v5, 2, v4
	ds_bpermute_b32 v4, v5, v2
	ds_bpermute_b32 v5, v5, v3
	v_cmp_gt_u32_e32 vcc, 62, v7
	s_waitcnt lgkmcnt(0)
	v_pk_add_f32 v[2:3], v[2:3], v[4:5]
	v_cndmask_b32_e64 v8, 0, 2, vcc
	v_add_lshl_u32 v8, v8, v6, 2
	ds_bpermute_b32 v4, v8, v2
	ds_bpermute_b32 v5, v8, v3
	v_cmp_gt_u32_e32 vcc, 60, v7
	s_waitcnt lgkmcnt(0)
	v_pk_add_f32 v[2:3], v[2:3], v[4:5]
	v_cndmask_b32_e64 v8, 0, 4, vcc
	v_add_lshl_u32 v8, v8, v6, 2
	;; [unrolled: 7-line block ×4, first 2 shown]
	ds_bpermute_b32 v4, v7, v2
	ds_bpermute_b32 v5, v7, v3
	v_mov_b32_e32 v7, 0x80
	v_lshl_or_b32 v6, v6, 2, v7
	s_waitcnt lgkmcnt(0)
	v_pk_add_f32 v[2:3], v[2:3], v[4:5]
	ds_bpermute_b32 v4, v6, v2
	ds_bpermute_b32 v5, v6, v3
	v_and_b32_e32 v6, 63, v0
	v_cmp_eq_u32_e32 vcc, 0, v6
	s_waitcnt lgkmcnt(0)
	v_pk_add_f32 v[2:3], v[2:3], v[4:5]
	s_and_saveexec_b64 s[4:5], vcc
; %bb.7:
	v_lshrrev_b32_e32 v4, 3, v0
	ds_write_b64 v4, v[2:3]
; %bb.8:
	s_or_b64 exec, exec, s[4:5]
	v_cmp_eq_u32_e32 vcc, 0, v0
	s_waitcnt lgkmcnt(0)
	s_barrier
	s_and_saveexec_b64 s[4:5], vcc
	s_cbranch_execz .LBB11_10
; %bb.9:
	v_mov_b32_e32 v6, 0
	ds_read_b64 v[4:5], v6 offset:8
	s_waitcnt lgkmcnt(0)
	v_pk_add_f32 v[2:3], v[2:3], v[4:5]
	ds_write_b64 v6, v[2:3]
.LBB11_10:
	s_or_b64 exec, exec, s[4:5]
	s_waitcnt lgkmcnt(0)
	s_barrier
	s_and_saveexec_b64 s[16:17], vcc
	s_cbranch_execz .LBB11_21
; %bb.11:
	s_mul_i32 s2, s11, s3
	s_mul_hi_u32 s4, s10, s3
	s_add_i32 s5, s4, s2
	s_mul_i32 s4, s10, s3
	s_lshl_b64 s[4:5], s[4:5], 3
	s_add_u32 s2, s6, s4
	s_addc_u32 s6, s7, s5
	s_lshl_b64 s[4:5], s[8:9], 3
	s_add_u32 s10, s2, s4
	s_addc_u32 s11, s6, s5
	v_mov_b32_e32 v3, 0
	s_load_dword s15, s[10:11], 0x4
	ds_read_b32 v5, v3
	s_mul_i32 s2, s31, s3
	s_mul_hi_u32 s4, s30, s3
	s_add_i32 s5, s4, s2
	s_mul_i32 s4, s30, s3
	s_lshl_b64 s[2:3], s[4:5], 3
	s_add_u32 s24, s26, s2
	s_waitcnt lgkmcnt(0)
	v_mul_f32_e64 v4, s15, s15
	v_max_f32_e32 v2, v5, v5
	s_addc_u32 s25, s27, s3
	v_max_f32_e32 v2, v2, v4
	s_cmp_lg_u64 s[28:29], 0
	v_cmp_nlt_f32_e32 vcc, 0, v2
	s_mov_b64 s[4:5], 0
	s_cselect_b64 s[2:3], -1, 0
	s_mov_b64 s[6:7], -1
	s_cbranch_vccz .LBB11_14
; %bb.12:
	v_mov_b32_e32 v2, 1.0
	v_mov_b32_e32 v6, v3
	v_mov_b32_e32 v7, v3
	s_mov_b64 s[6:7], 0
	s_and_b64 vcc, exec, s[2:3]
	ds_write_b64 v3, v[2:3]
	global_store_dwordx2 v3, v[6:7], s[24:25]
	s_cbranch_vccz .LBB11_14
; %bb.13:
	v_mov_b32_e32 v3, 0
	global_load_dword v6, v3, s[10:11]
	s_mov_b64 s[4:5], -1
	s_waitcnt vmcnt(0)
	global_store_dword v3, v6, s[28:29]
	global_store_dword v3, v2, s[10:11]
.LBB11_14:
	s_and_b64 vcc, exec, s[6:7]
	s_cbranch_vccz .LBB11_19
; %bb.15:
	v_mov_b32_e32 v2, 0
	global_load_dword v6, v2, s[10:11]
	s_mov_b32 s4, 0xf800000
	v_mov_b32_e32 v7, 0x260
	s_and_b64 s[2:3], exec, s[2:3]
	s_waitcnt vmcnt(0)
	v_fma_f32 v3, v6, v6, v4
	v_add_f32_e32 v3, v5, v3
	v_mul_f32_e32 v5, 0x4f800000, v3
	v_cmp_gt_f32_e32 vcc, s4, v3
	s_nop 1
	v_cndmask_b32_e32 v3, v3, v5, vcc
	v_sqrt_f32_e32 v5, v3
	s_nop 0
	v_add_u32_e32 v8, -1, v5
	v_add_u32_e32 v9, 1, v5
	v_fma_f32 v10, -v8, v5, v3
	v_fma_f32 v11, -v9, v5, v3
	v_cmp_ge_f32_e64 s[4:5], 0, v10
	s_nop 1
	v_cndmask_b32_e64 v5, v5, v8, s[4:5]
	v_cmp_lt_f32_e64 s[4:5], 0, v11
	s_nop 1
	v_cndmask_b32_e64 v5, v5, v9, s[4:5]
	v_mul_f32_e32 v8, 0x37800000, v5
	v_cndmask_b32_e32 v5, v5, v8, vcc
	v_cmp_class_f32_e32 vcc, v3, v7
	s_nop 1
	v_cndmask_b32_e32 v3, v5, v3, vcc
	v_cmp_le_f32_e32 vcc, 0, v6
	s_nop 1
	v_cndmask_b32_e64 v3, v3, -v3, vcc
	v_sub_f32_e32 v5, v6, v3
	v_sub_f32_e32 v8, v3, v6
	v_div_scale_f32 v6, s[4:5], v3, v3, -s15
	v_fmac_f32_e32 v4, v5, v5
	v_div_scale_f32 v9, s[6:7], v3, v3, v8
	v_rcp_f32_e32 v11, v6
	v_div_scale_f32 v12, s[8:9], v4, v4, v5
	v_div_scale_f32 v14, s[8:9], v4, v4, -s15
	v_rcp_f32_e32 v16, v9
	v_rcp_f32_e32 v17, v12
	;; [unrolled: 1-line block ×3, first 2 shown]
	v_fma_f32 v19, -v6, v11, 1.0
	v_div_scale_f32 v7, s[4:5], -s15, v3, -s15
	v_fma_f32 v20, -v9, v16, 1.0
	v_fmac_f32_e32 v11, v19, v11
	v_fma_f32 v19, -v12, v17, 1.0
	v_div_scale_f32 v13, vcc, v5, v4, v5
	v_fma_f32 v21, -v14, v18, 1.0
	v_fmac_f32_e32 v16, v20, v16
	v_mul_f32_e32 v20, v7, v11
	v_fmac_f32_e32 v17, v19, v17
	v_div_scale_f32 v10, s[6:7], v8, v3, v8
	v_div_scale_f32 v15, s[8:9], -s15, v4, -s15
	v_fmac_f32_e32 v18, v21, v18
	v_fma_f32 v21, -v6, v20, v7
	v_mul_f32_e32 v22, v13, v17
	v_mul_f32_e32 v19, v10, v16
	;; [unrolled: 1-line block ×3, first 2 shown]
	v_fmac_f32_e32 v20, v21, v11
	v_fma_f32 v21, -v12, v22, v13
	v_fma_f32 v24, -v9, v19, v10
	;; [unrolled: 1-line block ×3, first 2 shown]
	v_fmac_f32_e32 v22, v21, v17
	v_fmac_f32_e32 v19, v24, v16
	v_fma_f32 v24, -v6, v20, v7
	v_fmac_f32_e32 v23, v25, v18
	v_fma_f32 v6, -v12, v22, v13
	v_fma_f32 v7, -v14, v23, v15
	v_div_fmas_f32 v6, v6, v17, v22
	s_mov_b64 vcc, s[8:9]
	v_fma_f32 v9, -v9, v19, v10
	v_div_fixup_f32 v6, v6, v4, v5
	v_div_fmas_f32 v5, v7, v18, v23
	s_mov_b64 vcc, s[6:7]
	v_div_fixup_f32 v7, v5, v4, -s15
	v_div_fmas_f32 v4, v9, v16, v19
	s_mov_b64 vcc, s[4:5]
	v_div_fmas_f32 v5, v24, v11, v20
	v_div_fixup_f32 v4, v4, v3, v8
	v_div_fixup_f32 v5, v5, v3, -s15
	s_mov_b64 vcc, s[2:3]
	ds_write_b64 v2, v[6:7]
	global_store_dwordx2 v2, v[4:5], s[24:25]
	s_cbranch_vccz .LBB11_25
; %bb.16:
	v_mov_b32_e32 v4, 1.0
	global_store_dword v2, v3, s[28:29]
	global_store_dword v2, v4, s[10:11]
	s_cbranch_execnz .LBB11_18
.LBB11_17:
	v_mov_b32_e32 v2, 0
	global_store_dword v2, v3, s[10:11]
.LBB11_18:
	s_mov_b64 s[4:5], -1
.LBB11_19:
	s_andn2_b64 vcc, exec, s[4:5]
	s_cbranch_vccnz .LBB11_21
; %bb.20:
	v_mov_b32_e32 v2, 0
	global_store_dword v2, v2, s[10:11] offset:4
.LBB11_21:
	s_or_b64 exec, exec, s[16:17]
	s_waitcnt lgkmcnt(0)
	s_barrier
	s_and_saveexec_b64 s[2:3], s[0:1]
	s_cbranch_execz .LBB11_24
; %bb.22:
	v_mad_u64_u32 v[6:7], s[2:3], s22, v0, 0
	v_mov_b32_e32 v8, v7
	s_add_i32 s15, s36, s33
	v_mad_u64_u32 v[8:9], s[2:3], s23, v0, v[8:9]
	v_mov_b32_e32 v2, 0
	s_lshl_b64 s[0:1], s[14:15], 3
	s_lshl_b64 s[2:3], s[20:21], 3
	ds_read_b64 v[2:3], v2
	s_add_u32 s2, s18, s2
	s_addc_u32 s3, s19, s3
	s_add_u32 s0, s2, s0
	v_mov_b32_e32 v7, v8
	s_addc_u32 s1, s3, s1
	v_lshl_add_u64 v[6:7], v[6:7], 3, s[0:1]
	s_waitcnt lgkmcnt(0)
	v_mov_b32_e32 v4, v3
	v_mov_b32_e32 v5, v2
	v_lshl_add_u64 v[6:7], v[6:7], 0, 4
	s_lshl_b64 s[0:1], s[22:23], 10
	s_mov_b64 s[2:3], 0
	s_mov_b64 s[4:5], 0x80
.LBB11_23:                              ; =>This Inner Loop Header: Depth=1
	global_load_dwordx2 v[8:9], v[6:7], off offset:-4
	v_lshl_add_u64 v[0:1], v[0:1], 0, s[4:5]
	v_cmp_le_i64_e32 vcc, s[12:13], v[0:1]
	s_or_b64 s[2:3], vcc, s[2:3]
	s_waitcnt vmcnt(0)
	v_pk_mul_f32 v[10:11], v[4:5], v[8:9] op_sel:[0,1]
	s_nop 0
	v_pk_fma_f32 v[12:13], v[2:3], v[8:9], v[10:11] neg_lo:[0,0,1] neg_hi:[0,0,1]
	v_pk_fma_f32 v[8:9], v[2:3], v[8:9], v[10:11] op_sel_hi:[1,0,1]
	s_nop 0
	v_mov_b32_e32 v13, v9
	global_store_dwordx2 v[6:7], v[12:13], off offset:-4
	v_lshl_add_u64 v[6:7], v[6:7], 0, s[0:1]
	s_andn2_b64 exec, exec, s[2:3]
	s_cbranch_execnz .LBB11_23
.LBB11_24:
	s_endpgm
.LBB11_25:
	s_branch .LBB11_17
	.section	.rodata,"a",@progbits
	.p2align	6, 0x0
	.amdhsa_kernel _ZN9rocsolver6v33100L18larfg_kernel_smallILi128E19rocblas_complex_numIfElfPS3_EEvT1_T3_llPT2_llS6_lS5_lPT0_l
		.amdhsa_group_segment_fixed_size 16
		.amdhsa_private_segment_fixed_size 0
		.amdhsa_kernarg_size 104
		.amdhsa_user_sgpr_count 2
		.amdhsa_user_sgpr_dispatch_ptr 0
		.amdhsa_user_sgpr_queue_ptr 0
		.amdhsa_user_sgpr_kernarg_segment_ptr 1
		.amdhsa_user_sgpr_dispatch_id 0
		.amdhsa_user_sgpr_kernarg_preload_length 0
		.amdhsa_user_sgpr_kernarg_preload_offset 0
		.amdhsa_user_sgpr_private_segment_size 0
		.amdhsa_uses_dynamic_stack 0
		.amdhsa_enable_private_segment 0
		.amdhsa_system_sgpr_workgroup_id_x 1
		.amdhsa_system_sgpr_workgroup_id_y 0
		.amdhsa_system_sgpr_workgroup_id_z 1
		.amdhsa_system_sgpr_workgroup_info 0
		.amdhsa_system_vgpr_workitem_id 0
		.amdhsa_next_free_vgpr 26
		.amdhsa_next_free_sgpr 37
		.amdhsa_accum_offset 28
		.amdhsa_reserve_vcc 1
		.amdhsa_float_round_mode_32 0
		.amdhsa_float_round_mode_16_64 0
		.amdhsa_float_denorm_mode_32 3
		.amdhsa_float_denorm_mode_16_64 3
		.amdhsa_dx10_clamp 1
		.amdhsa_ieee_mode 1
		.amdhsa_fp16_overflow 0
		.amdhsa_tg_split 0
		.amdhsa_exception_fp_ieee_invalid_op 0
		.amdhsa_exception_fp_denorm_src 0
		.amdhsa_exception_fp_ieee_div_zero 0
		.amdhsa_exception_fp_ieee_overflow 0
		.amdhsa_exception_fp_ieee_underflow 0
		.amdhsa_exception_fp_ieee_inexact 0
		.amdhsa_exception_int_div_zero 0
	.end_amdhsa_kernel
	.section	.text._ZN9rocsolver6v33100L18larfg_kernel_smallILi128E19rocblas_complex_numIfElfPS3_EEvT1_T3_llPT2_llS6_lS5_lPT0_l,"axG",@progbits,_ZN9rocsolver6v33100L18larfg_kernel_smallILi128E19rocblas_complex_numIfElfPS3_EEvT1_T3_llPT2_llS6_lS5_lPT0_l,comdat
.Lfunc_end11:
	.size	_ZN9rocsolver6v33100L18larfg_kernel_smallILi128E19rocblas_complex_numIfElfPS3_EEvT1_T3_llPT2_llS6_lS5_lPT0_l, .Lfunc_end11-_ZN9rocsolver6v33100L18larfg_kernel_smallILi128E19rocblas_complex_numIfElfPS3_EEvT1_T3_llPT2_llS6_lS5_lPT0_l
                                        ; -- End function
	.set _ZN9rocsolver6v33100L18larfg_kernel_smallILi128E19rocblas_complex_numIfElfPS3_EEvT1_T3_llPT2_llS6_lS5_lPT0_l.num_vgpr, 26
	.set _ZN9rocsolver6v33100L18larfg_kernel_smallILi128E19rocblas_complex_numIfElfPS3_EEvT1_T3_llPT2_llS6_lS5_lPT0_l.num_agpr, 0
	.set _ZN9rocsolver6v33100L18larfg_kernel_smallILi128E19rocblas_complex_numIfElfPS3_EEvT1_T3_llPT2_llS6_lS5_lPT0_l.numbered_sgpr, 37
	.set _ZN9rocsolver6v33100L18larfg_kernel_smallILi128E19rocblas_complex_numIfElfPS3_EEvT1_T3_llPT2_llS6_lS5_lPT0_l.num_named_barrier, 0
	.set _ZN9rocsolver6v33100L18larfg_kernel_smallILi128E19rocblas_complex_numIfElfPS3_EEvT1_T3_llPT2_llS6_lS5_lPT0_l.private_seg_size, 0
	.set _ZN9rocsolver6v33100L18larfg_kernel_smallILi128E19rocblas_complex_numIfElfPS3_EEvT1_T3_llPT2_llS6_lS5_lPT0_l.uses_vcc, 1
	.set _ZN9rocsolver6v33100L18larfg_kernel_smallILi128E19rocblas_complex_numIfElfPS3_EEvT1_T3_llPT2_llS6_lS5_lPT0_l.uses_flat_scratch, 0
	.set _ZN9rocsolver6v33100L18larfg_kernel_smallILi128E19rocblas_complex_numIfElfPS3_EEvT1_T3_llPT2_llS6_lS5_lPT0_l.has_dyn_sized_stack, 0
	.set _ZN9rocsolver6v33100L18larfg_kernel_smallILi128E19rocblas_complex_numIfElfPS3_EEvT1_T3_llPT2_llS6_lS5_lPT0_l.has_recursion, 0
	.set _ZN9rocsolver6v33100L18larfg_kernel_smallILi128E19rocblas_complex_numIfElfPS3_EEvT1_T3_llPT2_llS6_lS5_lPT0_l.has_indirect_call, 0
	.section	.AMDGPU.csdata,"",@progbits
; Kernel info:
; codeLenInByte = 1724
; TotalNumSgprs: 43
; NumVgprs: 26
; NumAgprs: 0
; TotalNumVgprs: 26
; ScratchSize: 0
; MemoryBound: 0
; FloatMode: 240
; IeeeMode: 1
; LDSByteSize: 16 bytes/workgroup (compile time only)
; SGPRBlocks: 5
; VGPRBlocks: 3
; NumSGPRsForWavesPerEU: 43
; NumVGPRsForWavesPerEU: 26
; AccumOffset: 28
; Occupancy: 8
; WaveLimiterHint : 0
; COMPUTE_PGM_RSRC2:SCRATCH_EN: 0
; COMPUTE_PGM_RSRC2:USER_SGPR: 2
; COMPUTE_PGM_RSRC2:TRAP_HANDLER: 0
; COMPUTE_PGM_RSRC2:TGID_X_EN: 1
; COMPUTE_PGM_RSRC2:TGID_Y_EN: 0
; COMPUTE_PGM_RSRC2:TGID_Z_EN: 1
; COMPUTE_PGM_RSRC2:TIDIG_COMP_CNT: 0
; COMPUTE_PGM_RSRC3_GFX90A:ACCUM_OFFSET: 6
; COMPUTE_PGM_RSRC3_GFX90A:TG_SPLIT: 0
	.section	.text._ZN9rocsolver6v33100L18larfg_kernel_smallILi256E19rocblas_complex_numIfElfPS3_EEvT1_T3_llPT2_llS6_lS5_lPT0_l,"axG",@progbits,_ZN9rocsolver6v33100L18larfg_kernel_smallILi256E19rocblas_complex_numIfElfPS3_EEvT1_T3_llPT2_llS6_lS5_lPT0_l,comdat
	.globl	_ZN9rocsolver6v33100L18larfg_kernel_smallILi256E19rocblas_complex_numIfElfPS3_EEvT1_T3_llPT2_llS6_lS5_lPT0_l ; -- Begin function _ZN9rocsolver6v33100L18larfg_kernel_smallILi256E19rocblas_complex_numIfElfPS3_EEvT1_T3_llPT2_llS6_lS5_lPT0_l
	.p2align	8
	.type	_ZN9rocsolver6v33100L18larfg_kernel_smallILi256E19rocblas_complex_numIfElfPS3_EEvT1_T3_llPT2_llS6_lS5_lPT0_l,@function
_ZN9rocsolver6v33100L18larfg_kernel_smallILi256E19rocblas_complex_numIfElfPS3_EEvT1_T3_llPT2_llS6_lS5_lPT0_l: ; @_ZN9rocsolver6v33100L18larfg_kernel_smallILi256E19rocblas_complex_numIfElfPS3_EEvT1_T3_llPT2_llS6_lS5_lPT0_l
; %bb.0:
	s_load_dwordx16 s[4:19], s[0:1], 0x0
	s_mov_b64 s[28:29], 0
	s_waitcnt lgkmcnt(0)
	s_cmp_eq_u64 s[12:13], 0
	s_cbranch_scc1 .LBB12_2
; %bb.1:
	s_mul_i32 s2, s17, s3
	s_mul_hi_u32 s17, s16, s3
	s_add_i32 s17, s17, s2
	s_mul_i32 s16, s16, s3
	s_lshl_b64 s[16:17], s[16:17], 2
	s_add_u32 s2, s12, s16
	s_addc_u32 s16, s13, s17
	s_lshl_b64 s[12:13], s[14:15], 2
	s_add_u32 s28, s2, s12
	s_addc_u32 s29, s16, s13
.LBB12_2:
	s_load_dwordx8 s[20:27], s[0:1], 0x40
	s_load_dwordx2 s[30:31], s[0:1], 0x60
	s_add_u32 s12, s4, -1
	v_mov_b32_e32 v1, 0
	s_addc_u32 s13, s5, -1
	v_cmp_gt_i64_e64 s[0:1], s[12:13], v[0:1]
	s_waitcnt lgkmcnt(0)
	s_mul_i32 s33, s25, s3
	s_mul_hi_u32 s36, s24, s3
	s_mul_i32 s14, s24, s3
	v_mov_b32_e32 v3, v1
	v_mov_b32_e32 v2, v1
	s_and_saveexec_b64 s[4:5], s[0:1]
	s_cbranch_execz .LBB12_6
; %bb.3:
	v_mad_u64_u32 v[2:3], s[24:25], s22, v0, 0
	v_mov_b32_e32 v4, v3
	s_add_i32 s15, s36, s33
	v_mad_u64_u32 v[4:5], s[24:25], s23, v0, v[4:5]
	s_lshl_b64 s[16:17], s[14:15], 3
	s_lshl_b64 s[24:25], s[20:21], 3
	s_add_u32 s2, s18, s24
	s_addc_u32 s15, s19, s25
	s_add_u32 s16, s2, s16
	v_mov_b32_e32 v3, v4
	s_addc_u32 s17, s15, s17
	v_lshl_add_u64 v[4:5], v[2:3], 3, s[16:17]
	v_mov_b32_e32 v3, 0
	s_lshl_b64 s[16:17], s[22:23], 11
	s_mov_b64 s[24:25], 0
	s_mov_b64 s[34:35], 0x100
	v_mov_b64_e32 v[6:7], v[0:1]
	v_mov_b32_e32 v2, v3
.LBB12_4:                               ; =>This Inner Loop Header: Depth=1
	global_load_dwordx2 v[8:9], v[4:5], off
	v_lshl_add_u64 v[6:7], v[6:7], 0, s[34:35]
	v_cmp_le_i64_e32 vcc, s[12:13], v[6:7]
	v_lshl_add_u64 v[4:5], v[4:5], 0, s[16:17]
	s_or_b64 s[24:25], vcc, s[24:25]
	s_waitcnt vmcnt(0)
	v_pk_mul_f32 v[10:11], v[8:9], v[8:9] op_sel:[1,1] op_sel_hi:[0,1]
	v_pk_fma_f32 v[12:13], v[8:9], v[8:9], v[10:11]
	v_pk_fma_f32 v[8:9], v[8:9], v[8:9], v[10:11] op_sel_hi:[0,1,1] neg_lo:[0,0,1] neg_hi:[0,0,1]
	v_mov_b32_e32 v13, v9
	v_pk_add_f32 v[2:3], v[2:3], v[12:13]
	s_andn2_b64 exec, exec, s[24:25]
	s_cbranch_execnz .LBB12_4
; %bb.5:
	s_or_b64 exec, exec, s[24:25]
.LBB12_6:
	s_or_b64 exec, exec, s[4:5]
	v_mbcnt_lo_u32_b32 v4, -1, 0
	v_mbcnt_hi_u32_b32 v6, -1, v4
	v_and_b32_e32 v7, 63, v6
	v_cmp_ne_u32_e32 vcc, 63, v7
	s_nop 1
	v_addc_co_u32_e32 v4, vcc, 0, v6, vcc
	v_lshlrev_b32_e32 v5, 2, v4
	ds_bpermute_b32 v4, v5, v2
	ds_bpermute_b32 v5, v5, v3
	v_cmp_gt_u32_e32 vcc, 62, v7
	s_waitcnt lgkmcnt(0)
	v_pk_add_f32 v[2:3], v[2:3], v[4:5]
	v_cndmask_b32_e64 v8, 0, 2, vcc
	v_add_lshl_u32 v8, v8, v6, 2
	ds_bpermute_b32 v4, v8, v2
	ds_bpermute_b32 v5, v8, v3
	v_cmp_gt_u32_e32 vcc, 60, v7
	s_waitcnt lgkmcnt(0)
	v_pk_add_f32 v[2:3], v[2:3], v[4:5]
	v_cndmask_b32_e64 v8, 0, 4, vcc
	v_add_lshl_u32 v8, v8, v6, 2
	ds_bpermute_b32 v4, v8, v2
	ds_bpermute_b32 v5, v8, v3
	v_cmp_gt_u32_e32 vcc, 56, v7
	s_waitcnt lgkmcnt(0)
	v_pk_add_f32 v[2:3], v[2:3], v[4:5]
	v_cndmask_b32_e64 v8, 0, 8, vcc
	v_add_lshl_u32 v8, v8, v6, 2
	ds_bpermute_b32 v4, v8, v2
	ds_bpermute_b32 v5, v8, v3
	v_cmp_gt_u32_e32 vcc, 48, v7
	s_waitcnt lgkmcnt(0)
	v_pk_add_f32 v[2:3], v[2:3], v[4:5]
	v_cndmask_b32_e64 v7, 0, 16, vcc
	v_add_lshl_u32 v7, v7, v6, 2
	ds_bpermute_b32 v4, v7, v2
	ds_bpermute_b32 v5, v7, v3
	v_mov_b32_e32 v7, 0x80
	v_lshl_or_b32 v6, v6, 2, v7
	s_waitcnt lgkmcnt(0)
	v_pk_add_f32 v[2:3], v[2:3], v[4:5]
	ds_bpermute_b32 v4, v6, v2
	ds_bpermute_b32 v5, v6, v3
	v_and_b32_e32 v6, 63, v0
	v_cmp_eq_u32_e32 vcc, 0, v6
	s_waitcnt lgkmcnt(0)
	v_pk_add_f32 v[2:3], v[2:3], v[4:5]
	s_and_saveexec_b64 s[4:5], vcc
; %bb.7:
	v_lshrrev_b32_e32 v4, 3, v0
	ds_write_b64 v4, v[2:3]
; %bb.8:
	s_or_b64 exec, exec, s[4:5]
	v_cmp_eq_u32_e32 vcc, 0, v0
	s_waitcnt lgkmcnt(0)
	s_barrier
	s_and_saveexec_b64 s[4:5], vcc
	s_cbranch_execz .LBB12_10
; %bb.9:
	v_mov_b32_e32 v10, 0
	ds_read2_b64 v[4:7], v10 offset0:1 offset1:2
	ds_read_b64 v[8:9], v10 offset:24
	s_waitcnt lgkmcnt(1)
	v_pk_add_f32 v[2:3], v[2:3], v[4:5]
	s_nop 0
	v_pk_add_f32 v[2:3], v[2:3], v[6:7]
	s_waitcnt lgkmcnt(0)
	v_pk_add_f32 v[2:3], v[2:3], v[8:9]
	ds_write_b64 v10, v[2:3]
.LBB12_10:
	s_or_b64 exec, exec, s[4:5]
	s_waitcnt lgkmcnt(0)
	s_barrier
	s_and_saveexec_b64 s[16:17], vcc
	s_cbranch_execz .LBB12_21
; %bb.11:
	s_mul_i32 s2, s11, s3
	s_mul_hi_u32 s4, s10, s3
	s_add_i32 s5, s4, s2
	s_mul_i32 s4, s10, s3
	s_lshl_b64 s[4:5], s[4:5], 3
	s_add_u32 s2, s6, s4
	s_addc_u32 s6, s7, s5
	s_lshl_b64 s[4:5], s[8:9], 3
	s_add_u32 s10, s2, s4
	s_addc_u32 s11, s6, s5
	v_mov_b32_e32 v3, 0
	s_load_dword s15, s[10:11], 0x4
	ds_read_b32 v5, v3
	s_mul_i32 s2, s31, s3
	s_mul_hi_u32 s4, s30, s3
	s_add_i32 s5, s4, s2
	s_mul_i32 s4, s30, s3
	s_lshl_b64 s[2:3], s[4:5], 3
	s_add_u32 s24, s26, s2
	s_waitcnt lgkmcnt(0)
	v_mul_f32_e64 v4, s15, s15
	v_max_f32_e32 v2, v5, v5
	s_addc_u32 s25, s27, s3
	v_max_f32_e32 v2, v2, v4
	s_cmp_lg_u64 s[28:29], 0
	v_cmp_nlt_f32_e32 vcc, 0, v2
	s_mov_b64 s[4:5], 0
	s_cselect_b64 s[2:3], -1, 0
	s_mov_b64 s[6:7], -1
	s_cbranch_vccz .LBB12_14
; %bb.12:
	v_mov_b32_e32 v2, 1.0
	v_mov_b32_e32 v6, v3
	v_mov_b32_e32 v7, v3
	s_mov_b64 s[6:7], 0
	s_and_b64 vcc, exec, s[2:3]
	ds_write_b64 v3, v[2:3]
	global_store_dwordx2 v3, v[6:7], s[24:25]
	s_cbranch_vccz .LBB12_14
; %bb.13:
	v_mov_b32_e32 v3, 0
	global_load_dword v6, v3, s[10:11]
	s_mov_b64 s[4:5], -1
	s_waitcnt vmcnt(0)
	global_store_dword v3, v6, s[28:29]
	global_store_dword v3, v2, s[10:11]
.LBB12_14:
	s_and_b64 vcc, exec, s[6:7]
	s_cbranch_vccz .LBB12_19
; %bb.15:
	v_mov_b32_e32 v2, 0
	global_load_dword v6, v2, s[10:11]
	s_mov_b32 s4, 0xf800000
	v_mov_b32_e32 v7, 0x260
	s_and_b64 s[2:3], exec, s[2:3]
	s_waitcnt vmcnt(0)
	v_fma_f32 v3, v6, v6, v4
	v_add_f32_e32 v3, v5, v3
	v_mul_f32_e32 v5, 0x4f800000, v3
	v_cmp_gt_f32_e32 vcc, s4, v3
	s_nop 1
	v_cndmask_b32_e32 v3, v3, v5, vcc
	v_sqrt_f32_e32 v5, v3
	s_nop 0
	v_add_u32_e32 v8, -1, v5
	v_add_u32_e32 v9, 1, v5
	v_fma_f32 v10, -v8, v5, v3
	v_fma_f32 v11, -v9, v5, v3
	v_cmp_ge_f32_e64 s[4:5], 0, v10
	s_nop 1
	v_cndmask_b32_e64 v5, v5, v8, s[4:5]
	v_cmp_lt_f32_e64 s[4:5], 0, v11
	s_nop 1
	v_cndmask_b32_e64 v5, v5, v9, s[4:5]
	v_mul_f32_e32 v8, 0x37800000, v5
	v_cndmask_b32_e32 v5, v5, v8, vcc
	v_cmp_class_f32_e32 vcc, v3, v7
	s_nop 1
	v_cndmask_b32_e32 v3, v5, v3, vcc
	v_cmp_le_f32_e32 vcc, 0, v6
	s_nop 1
	v_cndmask_b32_e64 v3, v3, -v3, vcc
	v_sub_f32_e32 v5, v6, v3
	v_sub_f32_e32 v8, v3, v6
	v_div_scale_f32 v6, s[4:5], v3, v3, -s15
	v_fmac_f32_e32 v4, v5, v5
	v_div_scale_f32 v9, s[6:7], v3, v3, v8
	v_rcp_f32_e32 v11, v6
	v_div_scale_f32 v12, s[8:9], v4, v4, v5
	v_div_scale_f32 v14, s[8:9], v4, v4, -s15
	v_rcp_f32_e32 v16, v9
	v_rcp_f32_e32 v17, v12
	v_rcp_f32_e32 v18, v14
	v_fma_f32 v19, -v6, v11, 1.0
	v_div_scale_f32 v7, s[4:5], -s15, v3, -s15
	v_fma_f32 v20, -v9, v16, 1.0
	v_fmac_f32_e32 v11, v19, v11
	v_fma_f32 v19, -v12, v17, 1.0
	v_div_scale_f32 v13, vcc, v5, v4, v5
	v_fma_f32 v21, -v14, v18, 1.0
	v_fmac_f32_e32 v16, v20, v16
	v_mul_f32_e32 v20, v7, v11
	v_fmac_f32_e32 v17, v19, v17
	v_div_scale_f32 v10, s[6:7], v8, v3, v8
	v_div_scale_f32 v15, s[8:9], -s15, v4, -s15
	v_fmac_f32_e32 v18, v21, v18
	v_fma_f32 v21, -v6, v20, v7
	v_mul_f32_e32 v22, v13, v17
	v_mul_f32_e32 v19, v10, v16
	;; [unrolled: 1-line block ×3, first 2 shown]
	v_fmac_f32_e32 v20, v21, v11
	v_fma_f32 v21, -v12, v22, v13
	v_fma_f32 v24, -v9, v19, v10
	;; [unrolled: 1-line block ×3, first 2 shown]
	v_fmac_f32_e32 v22, v21, v17
	v_fmac_f32_e32 v19, v24, v16
	v_fma_f32 v24, -v6, v20, v7
	v_fmac_f32_e32 v23, v25, v18
	v_fma_f32 v6, -v12, v22, v13
	v_fma_f32 v7, -v14, v23, v15
	v_div_fmas_f32 v6, v6, v17, v22
	s_mov_b64 vcc, s[8:9]
	v_fma_f32 v9, -v9, v19, v10
	v_div_fixup_f32 v6, v6, v4, v5
	v_div_fmas_f32 v5, v7, v18, v23
	s_mov_b64 vcc, s[6:7]
	v_div_fixup_f32 v7, v5, v4, -s15
	v_div_fmas_f32 v4, v9, v16, v19
	s_mov_b64 vcc, s[4:5]
	v_div_fmas_f32 v5, v24, v11, v20
	v_div_fixup_f32 v4, v4, v3, v8
	v_div_fixup_f32 v5, v5, v3, -s15
	s_mov_b64 vcc, s[2:3]
	ds_write_b64 v2, v[6:7]
	global_store_dwordx2 v2, v[4:5], s[24:25]
	s_cbranch_vccz .LBB12_25
; %bb.16:
	v_mov_b32_e32 v4, 1.0
	global_store_dword v2, v3, s[28:29]
	global_store_dword v2, v4, s[10:11]
	s_cbranch_execnz .LBB12_18
.LBB12_17:
	v_mov_b32_e32 v2, 0
	global_store_dword v2, v3, s[10:11]
.LBB12_18:
	s_mov_b64 s[4:5], -1
.LBB12_19:
	s_andn2_b64 vcc, exec, s[4:5]
	s_cbranch_vccnz .LBB12_21
; %bb.20:
	v_mov_b32_e32 v2, 0
	global_store_dword v2, v2, s[10:11] offset:4
.LBB12_21:
	s_or_b64 exec, exec, s[16:17]
	s_waitcnt lgkmcnt(0)
	s_barrier
	s_and_saveexec_b64 s[2:3], s[0:1]
	s_cbranch_execz .LBB12_24
; %bb.22:
	v_mad_u64_u32 v[6:7], s[2:3], s22, v0, 0
	v_mov_b32_e32 v8, v7
	s_add_i32 s15, s36, s33
	v_mad_u64_u32 v[8:9], s[2:3], s23, v0, v[8:9]
	v_mov_b32_e32 v2, 0
	s_lshl_b64 s[0:1], s[14:15], 3
	s_lshl_b64 s[2:3], s[20:21], 3
	ds_read_b64 v[2:3], v2
	s_add_u32 s2, s18, s2
	s_addc_u32 s3, s19, s3
	s_add_u32 s0, s2, s0
	v_mov_b32_e32 v7, v8
	s_addc_u32 s1, s3, s1
	v_lshl_add_u64 v[6:7], v[6:7], 3, s[0:1]
	s_waitcnt lgkmcnt(0)
	v_mov_b32_e32 v4, v3
	v_mov_b32_e32 v5, v2
	v_lshl_add_u64 v[6:7], v[6:7], 0, 4
	s_lshl_b64 s[0:1], s[22:23], 11
	s_mov_b64 s[2:3], 0
	s_mov_b64 s[4:5], 0x100
.LBB12_23:                              ; =>This Inner Loop Header: Depth=1
	global_load_dwordx2 v[8:9], v[6:7], off offset:-4
	v_lshl_add_u64 v[0:1], v[0:1], 0, s[4:5]
	v_cmp_le_i64_e32 vcc, s[12:13], v[0:1]
	s_or_b64 s[2:3], vcc, s[2:3]
	s_waitcnt vmcnt(0)
	v_pk_mul_f32 v[10:11], v[4:5], v[8:9] op_sel:[0,1]
	s_nop 0
	v_pk_fma_f32 v[12:13], v[2:3], v[8:9], v[10:11] neg_lo:[0,0,1] neg_hi:[0,0,1]
	v_pk_fma_f32 v[8:9], v[2:3], v[8:9], v[10:11] op_sel_hi:[1,0,1]
	s_nop 0
	v_mov_b32_e32 v13, v9
	global_store_dwordx2 v[6:7], v[12:13], off offset:-4
	v_lshl_add_u64 v[6:7], v[6:7], 0, s[0:1]
	s_andn2_b64 exec, exec, s[2:3]
	s_cbranch_execnz .LBB12_23
.LBB12_24:
	s_endpgm
.LBB12_25:
	s_branch .LBB12_17
	.section	.rodata,"a",@progbits
	.p2align	6, 0x0
	.amdhsa_kernel _ZN9rocsolver6v33100L18larfg_kernel_smallILi256E19rocblas_complex_numIfElfPS3_EEvT1_T3_llPT2_llS6_lS5_lPT0_l
		.amdhsa_group_segment_fixed_size 32
		.amdhsa_private_segment_fixed_size 0
		.amdhsa_kernarg_size 104
		.amdhsa_user_sgpr_count 2
		.amdhsa_user_sgpr_dispatch_ptr 0
		.amdhsa_user_sgpr_queue_ptr 0
		.amdhsa_user_sgpr_kernarg_segment_ptr 1
		.amdhsa_user_sgpr_dispatch_id 0
		.amdhsa_user_sgpr_kernarg_preload_length 0
		.amdhsa_user_sgpr_kernarg_preload_offset 0
		.amdhsa_user_sgpr_private_segment_size 0
		.amdhsa_uses_dynamic_stack 0
		.amdhsa_enable_private_segment 0
		.amdhsa_system_sgpr_workgroup_id_x 1
		.amdhsa_system_sgpr_workgroup_id_y 0
		.amdhsa_system_sgpr_workgroup_id_z 1
		.amdhsa_system_sgpr_workgroup_info 0
		.amdhsa_system_vgpr_workitem_id 0
		.amdhsa_next_free_vgpr 26
		.amdhsa_next_free_sgpr 37
		.amdhsa_accum_offset 28
		.amdhsa_reserve_vcc 1
		.amdhsa_float_round_mode_32 0
		.amdhsa_float_round_mode_16_64 0
		.amdhsa_float_denorm_mode_32 3
		.amdhsa_float_denorm_mode_16_64 3
		.amdhsa_dx10_clamp 1
		.amdhsa_ieee_mode 1
		.amdhsa_fp16_overflow 0
		.amdhsa_tg_split 0
		.amdhsa_exception_fp_ieee_invalid_op 0
		.amdhsa_exception_fp_denorm_src 0
		.amdhsa_exception_fp_ieee_div_zero 0
		.amdhsa_exception_fp_ieee_overflow 0
		.amdhsa_exception_fp_ieee_underflow 0
		.amdhsa_exception_fp_ieee_inexact 0
		.amdhsa_exception_int_div_zero 0
	.end_amdhsa_kernel
	.section	.text._ZN9rocsolver6v33100L18larfg_kernel_smallILi256E19rocblas_complex_numIfElfPS3_EEvT1_T3_llPT2_llS6_lS5_lPT0_l,"axG",@progbits,_ZN9rocsolver6v33100L18larfg_kernel_smallILi256E19rocblas_complex_numIfElfPS3_EEvT1_T3_llPT2_llS6_lS5_lPT0_l,comdat
.Lfunc_end12:
	.size	_ZN9rocsolver6v33100L18larfg_kernel_smallILi256E19rocblas_complex_numIfElfPS3_EEvT1_T3_llPT2_llS6_lS5_lPT0_l, .Lfunc_end12-_ZN9rocsolver6v33100L18larfg_kernel_smallILi256E19rocblas_complex_numIfElfPS3_EEvT1_T3_llPT2_llS6_lS5_lPT0_l
                                        ; -- End function
	.set _ZN9rocsolver6v33100L18larfg_kernel_smallILi256E19rocblas_complex_numIfElfPS3_EEvT1_T3_llPT2_llS6_lS5_lPT0_l.num_vgpr, 26
	.set _ZN9rocsolver6v33100L18larfg_kernel_smallILi256E19rocblas_complex_numIfElfPS3_EEvT1_T3_llPT2_llS6_lS5_lPT0_l.num_agpr, 0
	.set _ZN9rocsolver6v33100L18larfg_kernel_smallILi256E19rocblas_complex_numIfElfPS3_EEvT1_T3_llPT2_llS6_lS5_lPT0_l.numbered_sgpr, 37
	.set _ZN9rocsolver6v33100L18larfg_kernel_smallILi256E19rocblas_complex_numIfElfPS3_EEvT1_T3_llPT2_llS6_lS5_lPT0_l.num_named_barrier, 0
	.set _ZN9rocsolver6v33100L18larfg_kernel_smallILi256E19rocblas_complex_numIfElfPS3_EEvT1_T3_llPT2_llS6_lS5_lPT0_l.private_seg_size, 0
	.set _ZN9rocsolver6v33100L18larfg_kernel_smallILi256E19rocblas_complex_numIfElfPS3_EEvT1_T3_llPT2_llS6_lS5_lPT0_l.uses_vcc, 1
	.set _ZN9rocsolver6v33100L18larfg_kernel_smallILi256E19rocblas_complex_numIfElfPS3_EEvT1_T3_llPT2_llS6_lS5_lPT0_l.uses_flat_scratch, 0
	.set _ZN9rocsolver6v33100L18larfg_kernel_smallILi256E19rocblas_complex_numIfElfPS3_EEvT1_T3_llPT2_llS6_lS5_lPT0_l.has_dyn_sized_stack, 0
	.set _ZN9rocsolver6v33100L18larfg_kernel_smallILi256E19rocblas_complex_numIfElfPS3_EEvT1_T3_llPT2_llS6_lS5_lPT0_l.has_recursion, 0
	.set _ZN9rocsolver6v33100L18larfg_kernel_smallILi256E19rocblas_complex_numIfElfPS3_EEvT1_T3_llPT2_llS6_lS5_lPT0_l.has_indirect_call, 0
	.section	.AMDGPU.csdata,"",@progbits
; Kernel info:
; codeLenInByte = 1756
; TotalNumSgprs: 43
; NumVgprs: 26
; NumAgprs: 0
; TotalNumVgprs: 26
; ScratchSize: 0
; MemoryBound: 0
; FloatMode: 240
; IeeeMode: 1
; LDSByteSize: 32 bytes/workgroup (compile time only)
; SGPRBlocks: 5
; VGPRBlocks: 3
; NumSGPRsForWavesPerEU: 43
; NumVGPRsForWavesPerEU: 26
; AccumOffset: 28
; Occupancy: 8
; WaveLimiterHint : 0
; COMPUTE_PGM_RSRC2:SCRATCH_EN: 0
; COMPUTE_PGM_RSRC2:USER_SGPR: 2
; COMPUTE_PGM_RSRC2:TRAP_HANDLER: 0
; COMPUTE_PGM_RSRC2:TGID_X_EN: 1
; COMPUTE_PGM_RSRC2:TGID_Y_EN: 0
; COMPUTE_PGM_RSRC2:TGID_Z_EN: 1
; COMPUTE_PGM_RSRC2:TIDIG_COMP_CNT: 0
; COMPUTE_PGM_RSRC3_GFX90A:ACCUM_OFFSET: 6
; COMPUTE_PGM_RSRC3_GFX90A:TG_SPLIT: 0
	.section	.text._ZN9rocsolver6v33100L18larfg_kernel_smallILi512E19rocblas_complex_numIfElfPS3_EEvT1_T3_llPT2_llS6_lS5_lPT0_l,"axG",@progbits,_ZN9rocsolver6v33100L18larfg_kernel_smallILi512E19rocblas_complex_numIfElfPS3_EEvT1_T3_llPT2_llS6_lS5_lPT0_l,comdat
	.globl	_ZN9rocsolver6v33100L18larfg_kernel_smallILi512E19rocblas_complex_numIfElfPS3_EEvT1_T3_llPT2_llS6_lS5_lPT0_l ; -- Begin function _ZN9rocsolver6v33100L18larfg_kernel_smallILi512E19rocblas_complex_numIfElfPS3_EEvT1_T3_llPT2_llS6_lS5_lPT0_l
	.p2align	8
	.type	_ZN9rocsolver6v33100L18larfg_kernel_smallILi512E19rocblas_complex_numIfElfPS3_EEvT1_T3_llPT2_llS6_lS5_lPT0_l,@function
_ZN9rocsolver6v33100L18larfg_kernel_smallILi512E19rocblas_complex_numIfElfPS3_EEvT1_T3_llPT2_llS6_lS5_lPT0_l: ; @_ZN9rocsolver6v33100L18larfg_kernel_smallILi512E19rocblas_complex_numIfElfPS3_EEvT1_T3_llPT2_llS6_lS5_lPT0_l
; %bb.0:
	s_load_dwordx16 s[4:19], s[0:1], 0x0
	s_mov_b64 s[28:29], 0
	s_waitcnt lgkmcnt(0)
	s_cmp_eq_u64 s[12:13], 0
	s_cbranch_scc1 .LBB13_2
; %bb.1:
	s_mul_i32 s2, s17, s3
	s_mul_hi_u32 s17, s16, s3
	s_add_i32 s17, s17, s2
	s_mul_i32 s16, s16, s3
	s_lshl_b64 s[16:17], s[16:17], 2
	s_add_u32 s2, s12, s16
	s_addc_u32 s16, s13, s17
	s_lshl_b64 s[12:13], s[14:15], 2
	s_add_u32 s28, s2, s12
	s_addc_u32 s29, s16, s13
.LBB13_2:
	s_load_dwordx8 s[20:27], s[0:1], 0x40
	s_load_dwordx2 s[30:31], s[0:1], 0x60
	s_add_u32 s12, s4, -1
	v_mov_b32_e32 v1, 0
	s_addc_u32 s13, s5, -1
	v_cmp_gt_i64_e64 s[0:1], s[12:13], v[0:1]
	s_waitcnt lgkmcnt(0)
	s_mul_i32 s33, s25, s3
	s_mul_hi_u32 s36, s24, s3
	s_mul_i32 s14, s24, s3
	v_mov_b32_e32 v3, v1
	v_mov_b32_e32 v2, v1
	s_and_saveexec_b64 s[4:5], s[0:1]
	s_cbranch_execz .LBB13_6
; %bb.3:
	v_mad_u64_u32 v[2:3], s[24:25], s22, v0, 0
	v_mov_b32_e32 v4, v3
	s_add_i32 s15, s36, s33
	v_mad_u64_u32 v[4:5], s[24:25], s23, v0, v[4:5]
	s_lshl_b64 s[16:17], s[14:15], 3
	s_lshl_b64 s[24:25], s[20:21], 3
	s_add_u32 s2, s18, s24
	s_addc_u32 s15, s19, s25
	s_add_u32 s16, s2, s16
	v_mov_b32_e32 v3, v4
	s_addc_u32 s17, s15, s17
	v_lshl_add_u64 v[4:5], v[2:3], 3, s[16:17]
	v_mov_b32_e32 v2, 0
	s_lshl_b64 s[16:17], s[22:23], 12
	s_mov_b64 s[24:25], 0
	s_mov_b64 s[34:35], 0x200
	v_mov_b64_e32 v[6:7], v[0:1]
	v_mov_b32_e32 v3, v2
.LBB13_4:                               ; =>This Inner Loop Header: Depth=1
	global_load_dwordx2 v[8:9], v[4:5], off
	v_lshl_add_u64 v[6:7], v[6:7], 0, s[34:35]
	v_cmp_le_i64_e32 vcc, s[12:13], v[6:7]
	v_lshl_add_u64 v[4:5], v[4:5], 0, s[16:17]
	s_or_b64 s[24:25], vcc, s[24:25]
	s_waitcnt vmcnt(0)
	v_pk_mul_f32 v[10:11], v[8:9], v[8:9] op_sel:[1,1] op_sel_hi:[0,1]
	v_pk_fma_f32 v[12:13], v[8:9], v[8:9], v[10:11]
	v_pk_fma_f32 v[8:9], v[8:9], v[8:9], v[10:11] op_sel_hi:[0,1,1] neg_lo:[0,0,1] neg_hi:[0,0,1]
	v_mov_b32_e32 v13, v9
	v_pk_add_f32 v[2:3], v[2:3], v[12:13]
	s_andn2_b64 exec, exec, s[24:25]
	s_cbranch_execnz .LBB13_4
; %bb.5:
	s_or_b64 exec, exec, s[24:25]
.LBB13_6:
	s_or_b64 exec, exec, s[4:5]
	v_mbcnt_lo_u32_b32 v4, -1, 0
	v_mbcnt_hi_u32_b32 v6, -1, v4
	v_and_b32_e32 v7, 63, v6
	v_cmp_ne_u32_e32 vcc, 63, v7
	s_nop 1
	v_addc_co_u32_e32 v4, vcc, 0, v6, vcc
	v_lshlrev_b32_e32 v5, 2, v4
	ds_bpermute_b32 v4, v5, v2
	ds_bpermute_b32 v5, v5, v3
	v_cmp_gt_u32_e32 vcc, 62, v7
	s_waitcnt lgkmcnt(0)
	v_pk_add_f32 v[2:3], v[2:3], v[4:5]
	v_cndmask_b32_e64 v8, 0, 2, vcc
	v_add_lshl_u32 v8, v8, v6, 2
	ds_bpermute_b32 v4, v8, v2
	ds_bpermute_b32 v5, v8, v3
	v_cmp_gt_u32_e32 vcc, 60, v7
	s_waitcnt lgkmcnt(0)
	v_pk_add_f32 v[2:3], v[2:3], v[4:5]
	v_cndmask_b32_e64 v4, 0, 4, vcc
	v_add_lshl_u32 v5, v4, v6, 2
	;; [unrolled: 7-line block ×4, first 2 shown]
	ds_bpermute_b32 v4, v7, v2
	ds_bpermute_b32 v5, v7, v3
	v_mov_b32_e32 v7, 0x80
	v_lshl_or_b32 v6, v6, 2, v7
	s_waitcnt lgkmcnt(0)
	v_pk_add_f32 v[2:3], v[2:3], v[4:5]
	ds_bpermute_b32 v4, v6, v2
	ds_bpermute_b32 v5, v6, v3
	v_and_b32_e32 v6, 63, v0
	v_cmp_eq_u32_e32 vcc, 0, v6
	s_waitcnt lgkmcnt(0)
	v_pk_add_f32 v[2:3], v[2:3], v[4:5]
	s_and_saveexec_b64 s[4:5], vcc
; %bb.7:
	v_lshrrev_b32_e32 v4, 3, v0
	ds_write_b64 v4, v[2:3]
; %bb.8:
	s_or_b64 exec, exec, s[4:5]
	v_cmp_eq_u32_e32 vcc, 0, v0
	s_waitcnt lgkmcnt(0)
	s_barrier
	s_and_saveexec_b64 s[4:5], vcc
	s_cbranch_execz .LBB13_10
; %bb.9:
	v_mov_b32_e32 v16, 0
	ds_read2_b64 v[4:7], v16 offset0:1 offset1:2
	ds_read2_b64 v[8:11], v16 offset0:3 offset1:4
	;; [unrolled: 1-line block ×3, first 2 shown]
	s_waitcnt lgkmcnt(2)
	v_pk_add_f32 v[2:3], v[2:3], v[4:5]
	s_nop 0
	v_pk_add_f32 v[2:3], v[2:3], v[6:7]
	ds_read_b64 v[4:5], v16 offset:56
	s_waitcnt lgkmcnt(2)
	v_pk_add_f32 v[2:3], v[2:3], v[8:9]
	s_nop 0
	v_pk_add_f32 v[2:3], v[2:3], v[10:11]
	s_waitcnt lgkmcnt(1)
	v_pk_add_f32 v[2:3], v[2:3], v[12:13]
	s_nop 0
	v_pk_add_f32 v[2:3], v[2:3], v[14:15]
	s_waitcnt lgkmcnt(0)
	v_pk_add_f32 v[2:3], v[2:3], v[4:5]
	ds_write_b64 v16, v[2:3]
.LBB13_10:
	s_or_b64 exec, exec, s[4:5]
	s_waitcnt lgkmcnt(0)
	s_barrier
	s_and_saveexec_b64 s[16:17], vcc
	s_cbranch_execz .LBB13_21
; %bb.11:
	s_mul_i32 s2, s11, s3
	s_mul_hi_u32 s4, s10, s3
	s_add_i32 s5, s4, s2
	s_mul_i32 s4, s10, s3
	s_lshl_b64 s[4:5], s[4:5], 3
	s_add_u32 s2, s6, s4
	s_addc_u32 s6, s7, s5
	s_lshl_b64 s[4:5], s[8:9], 3
	s_add_u32 s10, s2, s4
	s_addc_u32 s11, s6, s5
	v_mov_b32_e32 v3, 0
	s_load_dword s15, s[10:11], 0x4
	ds_read_b32 v5, v3
	s_mul_i32 s2, s31, s3
	s_mul_hi_u32 s4, s30, s3
	s_add_i32 s5, s4, s2
	s_mul_i32 s4, s30, s3
	s_lshl_b64 s[2:3], s[4:5], 3
	s_add_u32 s24, s26, s2
	s_waitcnt lgkmcnt(0)
	v_mul_f32_e64 v4, s15, s15
	v_max_f32_e32 v2, v5, v5
	s_addc_u32 s25, s27, s3
	v_max_f32_e32 v2, v2, v4
	s_cmp_lg_u64 s[28:29], 0
	v_cmp_nlt_f32_e32 vcc, 0, v2
	s_mov_b64 s[4:5], 0
	s_cselect_b64 s[2:3], -1, 0
	s_mov_b64 s[6:7], -1
	s_cbranch_vccz .LBB13_14
; %bb.12:
	v_mov_b32_e32 v2, 1.0
	v_mov_b32_e32 v6, v3
	v_mov_b32_e32 v7, v3
	s_mov_b64 s[6:7], 0
	s_and_b64 vcc, exec, s[2:3]
	ds_write_b64 v3, v[2:3]
	global_store_dwordx2 v3, v[6:7], s[24:25]
	s_cbranch_vccz .LBB13_14
; %bb.13:
	v_mov_b32_e32 v3, 0
	global_load_dword v6, v3, s[10:11]
	s_mov_b64 s[4:5], -1
	s_waitcnt vmcnt(0)
	global_store_dword v3, v6, s[28:29]
	global_store_dword v3, v2, s[10:11]
.LBB13_14:
	s_and_b64 vcc, exec, s[6:7]
	s_cbranch_vccz .LBB13_19
; %bb.15:
	v_mov_b32_e32 v2, 0
	global_load_dword v6, v2, s[10:11]
	s_mov_b32 s4, 0xf800000
	v_mov_b32_e32 v7, 0x260
	s_and_b64 s[2:3], exec, s[2:3]
	s_waitcnt vmcnt(0)
	v_fma_f32 v3, v6, v6, v4
	v_add_f32_e32 v3, v5, v3
	v_mul_f32_e32 v5, 0x4f800000, v3
	v_cmp_gt_f32_e32 vcc, s4, v3
	s_nop 1
	v_cndmask_b32_e32 v3, v3, v5, vcc
	v_sqrt_f32_e32 v5, v3
	s_nop 0
	v_add_u32_e32 v8, -1, v5
	v_add_u32_e32 v9, 1, v5
	v_fma_f32 v10, -v8, v5, v3
	v_fma_f32 v11, -v9, v5, v3
	v_cmp_ge_f32_e64 s[4:5], 0, v10
	s_nop 1
	v_cndmask_b32_e64 v5, v5, v8, s[4:5]
	v_cmp_lt_f32_e64 s[4:5], 0, v11
	s_nop 1
	v_cndmask_b32_e64 v5, v5, v9, s[4:5]
	v_mul_f32_e32 v8, 0x37800000, v5
	v_cndmask_b32_e32 v5, v5, v8, vcc
	v_cmp_class_f32_e32 vcc, v3, v7
	s_nop 1
	v_cndmask_b32_e32 v3, v5, v3, vcc
	v_cmp_le_f32_e32 vcc, 0, v6
	s_nop 1
	v_cndmask_b32_e64 v3, v3, -v3, vcc
	v_sub_f32_e32 v5, v6, v3
	v_sub_f32_e32 v8, v3, v6
	v_div_scale_f32 v6, s[4:5], v3, v3, -s15
	v_fmac_f32_e32 v4, v5, v5
	v_div_scale_f32 v9, s[6:7], v3, v3, v8
	v_rcp_f32_e32 v11, v6
	v_div_scale_f32 v12, s[8:9], v4, v4, v5
	v_div_scale_f32 v14, s[8:9], v4, v4, -s15
	v_rcp_f32_e32 v16, v9
	v_rcp_f32_e32 v17, v12
	;; [unrolled: 1-line block ×3, first 2 shown]
	v_fma_f32 v19, -v6, v11, 1.0
	v_div_scale_f32 v7, s[4:5], -s15, v3, -s15
	v_fma_f32 v20, -v9, v16, 1.0
	v_fmac_f32_e32 v11, v19, v11
	v_fma_f32 v19, -v12, v17, 1.0
	v_div_scale_f32 v13, vcc, v5, v4, v5
	v_fma_f32 v21, -v14, v18, 1.0
	v_fmac_f32_e32 v16, v20, v16
	v_mul_f32_e32 v20, v7, v11
	v_fmac_f32_e32 v17, v19, v17
	v_div_scale_f32 v10, s[6:7], v8, v3, v8
	v_div_scale_f32 v15, s[8:9], -s15, v4, -s15
	v_fmac_f32_e32 v18, v21, v18
	v_fma_f32 v21, -v6, v20, v7
	v_mul_f32_e32 v22, v13, v17
	v_mul_f32_e32 v19, v10, v16
	;; [unrolled: 1-line block ×3, first 2 shown]
	v_fmac_f32_e32 v20, v21, v11
	v_fma_f32 v21, -v12, v22, v13
	v_fma_f32 v24, -v9, v19, v10
	;; [unrolled: 1-line block ×3, first 2 shown]
	v_fmac_f32_e32 v22, v21, v17
	v_fmac_f32_e32 v19, v24, v16
	v_fma_f32 v24, -v6, v20, v7
	v_fmac_f32_e32 v23, v25, v18
	v_fma_f32 v6, -v12, v22, v13
	v_fma_f32 v7, -v14, v23, v15
	v_div_fmas_f32 v6, v6, v17, v22
	s_mov_b64 vcc, s[8:9]
	v_fma_f32 v9, -v9, v19, v10
	v_div_fixup_f32 v6, v6, v4, v5
	v_div_fmas_f32 v5, v7, v18, v23
	s_mov_b64 vcc, s[6:7]
	v_div_fixup_f32 v7, v5, v4, -s15
	v_div_fmas_f32 v4, v9, v16, v19
	s_mov_b64 vcc, s[4:5]
	v_div_fmas_f32 v5, v24, v11, v20
	v_div_fixup_f32 v4, v4, v3, v8
	v_div_fixup_f32 v5, v5, v3, -s15
	s_mov_b64 vcc, s[2:3]
	ds_write_b64 v2, v[6:7]
	global_store_dwordx2 v2, v[4:5], s[24:25]
	s_cbranch_vccz .LBB13_25
; %bb.16:
	v_mov_b32_e32 v4, 1.0
	global_store_dword v2, v3, s[28:29]
	global_store_dword v2, v4, s[10:11]
	s_cbranch_execnz .LBB13_18
.LBB13_17:
	v_mov_b32_e32 v2, 0
	global_store_dword v2, v3, s[10:11]
.LBB13_18:
	s_mov_b64 s[4:5], -1
.LBB13_19:
	s_andn2_b64 vcc, exec, s[4:5]
	s_cbranch_vccnz .LBB13_21
; %bb.20:
	v_mov_b32_e32 v2, 0
	global_store_dword v2, v2, s[10:11] offset:4
.LBB13_21:
	s_or_b64 exec, exec, s[16:17]
	s_waitcnt lgkmcnt(0)
	s_barrier
	s_and_saveexec_b64 s[2:3], s[0:1]
	s_cbranch_execz .LBB13_24
; %bb.22:
	v_mad_u64_u32 v[6:7], s[2:3], s22, v0, 0
	v_mov_b32_e32 v8, v7
	s_add_i32 s15, s36, s33
	v_mad_u64_u32 v[8:9], s[2:3], s23, v0, v[8:9]
	v_mov_b32_e32 v2, 0
	s_lshl_b64 s[0:1], s[14:15], 3
	s_lshl_b64 s[2:3], s[20:21], 3
	ds_read_b64 v[2:3], v2
	s_add_u32 s2, s18, s2
	s_addc_u32 s3, s19, s3
	s_add_u32 s0, s2, s0
	v_mov_b32_e32 v7, v8
	s_addc_u32 s1, s3, s1
	v_lshl_add_u64 v[6:7], v[6:7], 3, s[0:1]
	s_waitcnt lgkmcnt(0)
	v_mov_b32_e32 v4, v3
	v_mov_b32_e32 v5, v2
	v_lshl_add_u64 v[6:7], v[6:7], 0, 4
	s_lshl_b64 s[0:1], s[22:23], 12
	s_mov_b64 s[2:3], 0
	s_mov_b64 s[4:5], 0x200
.LBB13_23:                              ; =>This Inner Loop Header: Depth=1
	global_load_dwordx2 v[8:9], v[6:7], off offset:-4
	v_lshl_add_u64 v[0:1], v[0:1], 0, s[4:5]
	v_cmp_le_i64_e32 vcc, s[12:13], v[0:1]
	s_or_b64 s[2:3], vcc, s[2:3]
	s_waitcnt vmcnt(0)
	v_pk_mul_f32 v[10:11], v[4:5], v[8:9] op_sel:[0,1]
	s_nop 0
	v_pk_fma_f32 v[12:13], v[2:3], v[8:9], v[10:11] neg_lo:[0,0,1] neg_hi:[0,0,1]
	v_pk_fma_f32 v[8:9], v[2:3], v[8:9], v[10:11] op_sel_hi:[1,0,1]
	s_nop 0
	v_mov_b32_e32 v13, v9
	global_store_dwordx2 v[6:7], v[12:13], off offset:-4
	v_lshl_add_u64 v[6:7], v[6:7], 0, s[0:1]
	s_andn2_b64 exec, exec, s[2:3]
	s_cbranch_execnz .LBB13_23
.LBB13_24:
	s_endpgm
.LBB13_25:
	s_branch .LBB13_17
	.section	.rodata,"a",@progbits
	.p2align	6, 0x0
	.amdhsa_kernel _ZN9rocsolver6v33100L18larfg_kernel_smallILi512E19rocblas_complex_numIfElfPS3_EEvT1_T3_llPT2_llS6_lS5_lPT0_l
		.amdhsa_group_segment_fixed_size 64
		.amdhsa_private_segment_fixed_size 0
		.amdhsa_kernarg_size 104
		.amdhsa_user_sgpr_count 2
		.amdhsa_user_sgpr_dispatch_ptr 0
		.amdhsa_user_sgpr_queue_ptr 0
		.amdhsa_user_sgpr_kernarg_segment_ptr 1
		.amdhsa_user_sgpr_dispatch_id 0
		.amdhsa_user_sgpr_kernarg_preload_length 0
		.amdhsa_user_sgpr_kernarg_preload_offset 0
		.amdhsa_user_sgpr_private_segment_size 0
		.amdhsa_uses_dynamic_stack 0
		.amdhsa_enable_private_segment 0
		.amdhsa_system_sgpr_workgroup_id_x 1
		.amdhsa_system_sgpr_workgroup_id_y 0
		.amdhsa_system_sgpr_workgroup_id_z 1
		.amdhsa_system_sgpr_workgroup_info 0
		.amdhsa_system_vgpr_workitem_id 0
		.amdhsa_next_free_vgpr 26
		.amdhsa_next_free_sgpr 37
		.amdhsa_accum_offset 28
		.amdhsa_reserve_vcc 1
		.amdhsa_float_round_mode_32 0
		.amdhsa_float_round_mode_16_64 0
		.amdhsa_float_denorm_mode_32 3
		.amdhsa_float_denorm_mode_16_64 3
		.amdhsa_dx10_clamp 1
		.amdhsa_ieee_mode 1
		.amdhsa_fp16_overflow 0
		.amdhsa_tg_split 0
		.amdhsa_exception_fp_ieee_invalid_op 0
		.amdhsa_exception_fp_denorm_src 0
		.amdhsa_exception_fp_ieee_div_zero 0
		.amdhsa_exception_fp_ieee_overflow 0
		.amdhsa_exception_fp_ieee_underflow 0
		.amdhsa_exception_fp_ieee_inexact 0
		.amdhsa_exception_int_div_zero 0
	.end_amdhsa_kernel
	.section	.text._ZN9rocsolver6v33100L18larfg_kernel_smallILi512E19rocblas_complex_numIfElfPS3_EEvT1_T3_llPT2_llS6_lS5_lPT0_l,"axG",@progbits,_ZN9rocsolver6v33100L18larfg_kernel_smallILi512E19rocblas_complex_numIfElfPS3_EEvT1_T3_llPT2_llS6_lS5_lPT0_l,comdat
.Lfunc_end13:
	.size	_ZN9rocsolver6v33100L18larfg_kernel_smallILi512E19rocblas_complex_numIfElfPS3_EEvT1_T3_llPT2_llS6_lS5_lPT0_l, .Lfunc_end13-_ZN9rocsolver6v33100L18larfg_kernel_smallILi512E19rocblas_complex_numIfElfPS3_EEvT1_T3_llPT2_llS6_lS5_lPT0_l
                                        ; -- End function
	.set _ZN9rocsolver6v33100L18larfg_kernel_smallILi512E19rocblas_complex_numIfElfPS3_EEvT1_T3_llPT2_llS6_lS5_lPT0_l.num_vgpr, 26
	.set _ZN9rocsolver6v33100L18larfg_kernel_smallILi512E19rocblas_complex_numIfElfPS3_EEvT1_T3_llPT2_llS6_lS5_lPT0_l.num_agpr, 0
	.set _ZN9rocsolver6v33100L18larfg_kernel_smallILi512E19rocblas_complex_numIfElfPS3_EEvT1_T3_llPT2_llS6_lS5_lPT0_l.numbered_sgpr, 37
	.set _ZN9rocsolver6v33100L18larfg_kernel_smallILi512E19rocblas_complex_numIfElfPS3_EEvT1_T3_llPT2_llS6_lS5_lPT0_l.num_named_barrier, 0
	.set _ZN9rocsolver6v33100L18larfg_kernel_smallILi512E19rocblas_complex_numIfElfPS3_EEvT1_T3_llPT2_llS6_lS5_lPT0_l.private_seg_size, 0
	.set _ZN9rocsolver6v33100L18larfg_kernel_smallILi512E19rocblas_complex_numIfElfPS3_EEvT1_T3_llPT2_llS6_lS5_lPT0_l.uses_vcc, 1
	.set _ZN9rocsolver6v33100L18larfg_kernel_smallILi512E19rocblas_complex_numIfElfPS3_EEvT1_T3_llPT2_llS6_lS5_lPT0_l.uses_flat_scratch, 0
	.set _ZN9rocsolver6v33100L18larfg_kernel_smallILi512E19rocblas_complex_numIfElfPS3_EEvT1_T3_llPT2_llS6_lS5_lPT0_l.has_dyn_sized_stack, 0
	.set _ZN9rocsolver6v33100L18larfg_kernel_smallILi512E19rocblas_complex_numIfElfPS3_EEvT1_T3_llPT2_llS6_lS5_lPT0_l.has_recursion, 0
	.set _ZN9rocsolver6v33100L18larfg_kernel_smallILi512E19rocblas_complex_numIfElfPS3_EEvT1_T3_llPT2_llS6_lS5_lPT0_l.has_indirect_call, 0
	.section	.AMDGPU.csdata,"",@progbits
; Kernel info:
; codeLenInByte = 1820
; TotalNumSgprs: 43
; NumVgprs: 26
; NumAgprs: 0
; TotalNumVgprs: 26
; ScratchSize: 0
; MemoryBound: 0
; FloatMode: 240
; IeeeMode: 1
; LDSByteSize: 64 bytes/workgroup (compile time only)
; SGPRBlocks: 5
; VGPRBlocks: 3
; NumSGPRsForWavesPerEU: 43
; NumVGPRsForWavesPerEU: 26
; AccumOffset: 28
; Occupancy: 8
; WaveLimiterHint : 0
; COMPUTE_PGM_RSRC2:SCRATCH_EN: 0
; COMPUTE_PGM_RSRC2:USER_SGPR: 2
; COMPUTE_PGM_RSRC2:TRAP_HANDLER: 0
; COMPUTE_PGM_RSRC2:TGID_X_EN: 1
; COMPUTE_PGM_RSRC2:TGID_Y_EN: 0
; COMPUTE_PGM_RSRC2:TGID_Z_EN: 1
; COMPUTE_PGM_RSRC2:TIDIG_COMP_CNT: 0
; COMPUTE_PGM_RSRC3_GFX90A:ACCUM_OFFSET: 6
; COMPUTE_PGM_RSRC3_GFX90A:TG_SPLIT: 0
	.section	.text._ZN9rocsolver6v33100L18larfg_kernel_smallILi1024E19rocblas_complex_numIfElfPS3_EEvT1_T3_llPT2_llS6_lS5_lPT0_l,"axG",@progbits,_ZN9rocsolver6v33100L18larfg_kernel_smallILi1024E19rocblas_complex_numIfElfPS3_EEvT1_T3_llPT2_llS6_lS5_lPT0_l,comdat
	.globl	_ZN9rocsolver6v33100L18larfg_kernel_smallILi1024E19rocblas_complex_numIfElfPS3_EEvT1_T3_llPT2_llS6_lS5_lPT0_l ; -- Begin function _ZN9rocsolver6v33100L18larfg_kernel_smallILi1024E19rocblas_complex_numIfElfPS3_EEvT1_T3_llPT2_llS6_lS5_lPT0_l
	.p2align	8
	.type	_ZN9rocsolver6v33100L18larfg_kernel_smallILi1024E19rocblas_complex_numIfElfPS3_EEvT1_T3_llPT2_llS6_lS5_lPT0_l,@function
_ZN9rocsolver6v33100L18larfg_kernel_smallILi1024E19rocblas_complex_numIfElfPS3_EEvT1_T3_llPT2_llS6_lS5_lPT0_l: ; @_ZN9rocsolver6v33100L18larfg_kernel_smallILi1024E19rocblas_complex_numIfElfPS3_EEvT1_T3_llPT2_llS6_lS5_lPT0_l
; %bb.0:
	s_load_dwordx16 s[4:19], s[0:1], 0x0
	s_mov_b64 s[28:29], 0
	s_waitcnt lgkmcnt(0)
	s_cmp_eq_u64 s[12:13], 0
	s_cbranch_scc1 .LBB14_2
; %bb.1:
	s_mul_i32 s2, s17, s3
	s_mul_hi_u32 s17, s16, s3
	s_add_i32 s17, s17, s2
	s_mul_i32 s16, s16, s3
	s_lshl_b64 s[16:17], s[16:17], 2
	s_add_u32 s2, s12, s16
	s_addc_u32 s16, s13, s17
	s_lshl_b64 s[12:13], s[14:15], 2
	s_add_u32 s28, s2, s12
	s_addc_u32 s29, s16, s13
.LBB14_2:
	s_load_dwordx8 s[20:27], s[0:1], 0x40
	s_load_dwordx2 s[30:31], s[0:1], 0x60
	s_add_u32 s12, s4, -1
	v_mov_b32_e32 v1, 0
	s_addc_u32 s13, s5, -1
	v_cmp_gt_i64_e64 s[0:1], s[12:13], v[0:1]
	s_waitcnt lgkmcnt(0)
	s_mul_i32 s33, s25, s3
	s_mul_hi_u32 s36, s24, s3
	s_mul_i32 s14, s24, s3
	v_mov_b32_e32 v5, v1
	v_mov_b32_e32 v4, v1
	s_and_saveexec_b64 s[4:5], s[0:1]
	s_cbranch_execz .LBB14_6
; %bb.3:
	v_mad_u64_u32 v[2:3], s[24:25], s22, v0, 0
	v_mov_b32_e32 v4, v3
	s_add_i32 s15, s36, s33
	v_mad_u64_u32 v[4:5], s[24:25], s23, v0, v[4:5]
	s_lshl_b64 s[16:17], s[14:15], 3
	s_lshl_b64 s[24:25], s[20:21], 3
	s_add_u32 s2, s18, s24
	s_addc_u32 s15, s19, s25
	s_add_u32 s16, s2, s16
	v_mov_b32_e32 v3, v4
	s_addc_u32 s17, s15, s17
	v_lshl_add_u64 v[4:5], v[2:3], 3, s[16:17]
	v_mov_b32_e32 v2, 0
	s_lshl_b64 s[16:17], s[22:23], 13
	s_mov_b64 s[24:25], 0
	s_mov_b64 s[34:35], 0x400
	v_mov_b64_e32 v[6:7], v[0:1]
	v_mov_b32_e32 v3, v2
.LBB14_4:                               ; =>This Inner Loop Header: Depth=1
	global_load_dwordx2 v[8:9], v[4:5], off
	v_lshl_add_u64 v[6:7], v[6:7], 0, s[34:35]
	v_cmp_le_i64_e32 vcc, s[12:13], v[6:7]
	v_lshl_add_u64 v[4:5], v[4:5], 0, s[16:17]
	s_or_b64 s[24:25], vcc, s[24:25]
	s_waitcnt vmcnt(0)
	v_pk_mul_f32 v[10:11], v[8:9], v[8:9] op_sel:[0,1] op_sel_hi:[0,0]
	v_pk_fma_f32 v[12:13], v[8:9], v[8:9], v[10:11] op_sel:[1,0,0] neg_lo:[0,0,1] neg_hi:[0,0,1]
	v_pk_fma_f32 v[8:9], v[8:9], v[8:9], v[10:11] op_sel:[1,0,0]
	s_nop 0
	v_mov_b32_e32 v13, v9
	v_pk_add_f32 v[2:3], v[2:3], v[12:13]
	s_andn2_b64 exec, exec, s[24:25]
	s_cbranch_execnz .LBB14_4
; %bb.5:
	s_or_b64 exec, exec, s[24:25]
	v_mov_b32_e32 v5, v2
	v_mov_b32_e32 v4, v3
.LBB14_6:
	s_or_b64 exec, exec, s[4:5]
	v_mbcnt_lo_u32_b32 v2, -1, 0
	v_mbcnt_hi_u32_b32 v6, -1, v2
	v_and_b32_e32 v7, 63, v6
	v_cmp_ne_u32_e32 vcc, 63, v7
	s_nop 1
	v_addc_co_u32_e32 v2, vcc, 0, v6, vcc
	v_lshlrev_b32_e32 v3, 2, v2
	ds_bpermute_b32 v2, v3, v4
	ds_bpermute_b32 v3, v3, v5
	v_cmp_gt_u32_e32 vcc, 62, v7
	s_waitcnt lgkmcnt(0)
	v_pk_add_f32 v[2:3], v[4:5], v[2:3]
	v_cndmask_b32_e64 v8, 0, 2, vcc
	v_add_lshl_u32 v8, v8, v6, 2
	ds_bpermute_b32 v4, v8, v2
	ds_bpermute_b32 v5, v8, v3
	v_cmp_gt_u32_e32 vcc, 60, v7
	s_waitcnt lgkmcnt(0)
	v_pk_add_f32 v[2:3], v[2:3], v[4:5]
	v_cndmask_b32_e64 v8, 0, 4, vcc
	v_add_lshl_u32 v8, v8, v6, 2
	;; [unrolled: 7-line block ×4, first 2 shown]
	ds_bpermute_b32 v4, v7, v2
	ds_bpermute_b32 v5, v7, v3
	v_mov_b32_e32 v7, 0x80
	v_lshl_or_b32 v6, v6, 2, v7
	s_waitcnt lgkmcnt(0)
	v_pk_add_f32 v[2:3], v[2:3], v[4:5]
	ds_bpermute_b32 v4, v6, v2
	ds_bpermute_b32 v5, v6, v3
	v_and_b32_e32 v6, 63, v0
	v_cmp_eq_u32_e32 vcc, 0, v6
	s_waitcnt lgkmcnt(0)
	v_pk_add_f32 v[2:3], v[2:3], v[4:5]
	s_and_saveexec_b64 s[4:5], vcc
; %bb.7:
	v_lshrrev_b32_e32 v4, 3, v0
	ds_write_b64 v4, v[2:3]
; %bb.8:
	s_or_b64 exec, exec, s[4:5]
	v_cmp_eq_u32_e32 vcc, 0, v0
	s_waitcnt lgkmcnt(0)
	s_barrier
	s_and_saveexec_b64 s[4:5], vcc
	s_cbranch_execz .LBB14_10
; %bb.9:
	v_mov_b32_e32 v24, 0
	ds_read2_b64 v[4:7], v24 offset0:1 offset1:2
	ds_read2_b64 v[8:11], v24 offset0:3 offset1:4
	;; [unrolled: 1-line block ×5, first 2 shown]
	s_waitcnt lgkmcnt(4)
	v_pk_add_f32 v[2:3], v[2:3], v[4:5]
	s_nop 0
	v_pk_add_f32 v[2:3], v[2:3], v[6:7]
	s_waitcnt lgkmcnt(3)
	v_pk_add_f32 v[2:3], v[2:3], v[8:9]
	s_nop 0
	v_pk_add_f32 v[2:3], v[2:3], v[10:11]
	s_waitcnt lgkmcnt(2)
	v_pk_add_f32 v[2:3], v[2:3], v[12:13]
	ds_read_b64 v[12:13], v24 offset:120
	v_pk_add_f32 v[2:3], v[2:3], v[14:15]
	s_waitcnt lgkmcnt(2)
	v_pk_add_f32 v[2:3], v[2:3], v[16:17]
	s_nop 0
	v_pk_add_f32 v[6:7], v[2:3], v[18:19]
	ds_read2_b64 v[2:5], v24 offset0:11 offset1:12
	s_waitcnt lgkmcnt(2)
	v_pk_add_f32 v[10:11], v[6:7], v[20:21]
	ds_read2_b64 v[6:9], v24 offset0:13 offset1:14
	v_pk_add_f32 v[10:11], v[10:11], v[22:23]
	s_waitcnt lgkmcnt(1)
	v_pk_add_f32 v[2:3], v[10:11], v[2:3]
	s_nop 0
	v_pk_add_f32 v[2:3], v[2:3], v[4:5]
	s_waitcnt lgkmcnt(0)
	v_pk_add_f32 v[2:3], v[2:3], v[6:7]
	s_nop 0
	v_pk_add_f32 v[2:3], v[2:3], v[8:9]
	s_nop 0
	v_pk_add_f32 v[2:3], v[2:3], v[12:13]
	ds_write_b64 v24, v[2:3]
.LBB14_10:
	s_or_b64 exec, exec, s[4:5]
	s_waitcnt lgkmcnt(0)
	s_barrier
	s_and_saveexec_b64 s[16:17], vcc
	s_cbranch_execz .LBB14_21
; %bb.11:
	s_mul_i32 s2, s11, s3
	s_mul_hi_u32 s4, s10, s3
	s_add_i32 s5, s4, s2
	s_mul_i32 s4, s10, s3
	s_lshl_b64 s[4:5], s[4:5], 3
	s_add_u32 s2, s6, s4
	s_addc_u32 s6, s7, s5
	s_lshl_b64 s[4:5], s[8:9], 3
	s_add_u32 s10, s2, s4
	s_addc_u32 s11, s6, s5
	v_mov_b32_e32 v3, 0
	s_load_dword s15, s[10:11], 0x4
	ds_read_b32 v5, v3
	s_mul_i32 s2, s31, s3
	s_mul_hi_u32 s4, s30, s3
	s_add_i32 s5, s4, s2
	s_mul_i32 s4, s30, s3
	s_lshl_b64 s[2:3], s[4:5], 3
	s_add_u32 s24, s26, s2
	s_waitcnt lgkmcnt(0)
	v_mul_f32_e64 v4, s15, s15
	v_max_f32_e32 v2, v5, v5
	s_addc_u32 s25, s27, s3
	v_max_f32_e32 v2, v2, v4
	s_cmp_lg_u64 s[28:29], 0
	v_cmp_nlt_f32_e32 vcc, 0, v2
	s_mov_b64 s[4:5], 0
	s_cselect_b64 s[2:3], -1, 0
	s_mov_b64 s[6:7], -1
	s_cbranch_vccz .LBB14_14
; %bb.12:
	v_mov_b32_e32 v2, 1.0
	v_mov_b32_e32 v6, v3
	v_mov_b32_e32 v7, v3
	s_mov_b64 s[6:7], 0
	s_and_b64 vcc, exec, s[2:3]
	ds_write_b64 v3, v[2:3]
	global_store_dwordx2 v3, v[6:7], s[24:25]
	s_cbranch_vccz .LBB14_14
; %bb.13:
	v_mov_b32_e32 v3, 0
	global_load_dword v6, v3, s[10:11]
	s_mov_b64 s[4:5], -1
	s_waitcnt vmcnt(0)
	global_store_dword v3, v6, s[28:29]
	global_store_dword v3, v2, s[10:11]
.LBB14_14:
	s_and_b64 vcc, exec, s[6:7]
	s_cbranch_vccz .LBB14_19
; %bb.15:
	v_mov_b32_e32 v2, 0
	global_load_dword v6, v2, s[10:11]
	s_mov_b32 s4, 0xf800000
	v_mov_b32_e32 v7, 0x260
	s_and_b64 s[2:3], exec, s[2:3]
	s_waitcnt vmcnt(0)
	v_fma_f32 v3, v6, v6, v4
	v_add_f32_e32 v3, v5, v3
	v_mul_f32_e32 v5, 0x4f800000, v3
	v_cmp_gt_f32_e32 vcc, s4, v3
	s_nop 1
	v_cndmask_b32_e32 v3, v3, v5, vcc
	v_sqrt_f32_e32 v5, v3
	s_nop 0
	v_add_u32_e32 v8, -1, v5
	v_add_u32_e32 v9, 1, v5
	v_fma_f32 v10, -v8, v5, v3
	v_fma_f32 v11, -v9, v5, v3
	v_cmp_ge_f32_e64 s[4:5], 0, v10
	s_nop 1
	v_cndmask_b32_e64 v5, v5, v8, s[4:5]
	v_cmp_lt_f32_e64 s[4:5], 0, v11
	s_nop 1
	v_cndmask_b32_e64 v5, v5, v9, s[4:5]
	v_mul_f32_e32 v8, 0x37800000, v5
	v_cndmask_b32_e32 v5, v5, v8, vcc
	v_cmp_class_f32_e32 vcc, v3, v7
	s_nop 1
	v_cndmask_b32_e32 v3, v5, v3, vcc
	v_cmp_le_f32_e32 vcc, 0, v6
	s_nop 1
	v_cndmask_b32_e64 v3, v3, -v3, vcc
	v_sub_f32_e32 v5, v6, v3
	v_sub_f32_e32 v8, v3, v6
	v_div_scale_f32 v6, s[4:5], v3, v3, -s15
	v_fmac_f32_e32 v4, v5, v5
	v_div_scale_f32 v9, s[6:7], v3, v3, v8
	v_rcp_f32_e32 v11, v6
	v_div_scale_f32 v12, s[8:9], v4, v4, v5
	v_div_scale_f32 v14, s[8:9], v4, v4, -s15
	v_rcp_f32_e32 v16, v9
	v_rcp_f32_e32 v17, v12
	;; [unrolled: 1-line block ×3, first 2 shown]
	v_fma_f32 v19, -v6, v11, 1.0
	v_div_scale_f32 v7, s[4:5], -s15, v3, -s15
	v_fma_f32 v20, -v9, v16, 1.0
	v_fmac_f32_e32 v11, v19, v11
	v_fma_f32 v19, -v12, v17, 1.0
	v_div_scale_f32 v13, vcc, v5, v4, v5
	v_fma_f32 v21, -v14, v18, 1.0
	v_fmac_f32_e32 v16, v20, v16
	v_mul_f32_e32 v20, v7, v11
	v_fmac_f32_e32 v17, v19, v17
	v_div_scale_f32 v10, s[6:7], v8, v3, v8
	v_div_scale_f32 v15, s[8:9], -s15, v4, -s15
	v_fmac_f32_e32 v18, v21, v18
	v_fma_f32 v21, -v6, v20, v7
	v_mul_f32_e32 v22, v13, v17
	v_mul_f32_e32 v19, v10, v16
	;; [unrolled: 1-line block ×3, first 2 shown]
	v_fmac_f32_e32 v20, v21, v11
	v_fma_f32 v21, -v12, v22, v13
	v_fma_f32 v24, -v9, v19, v10
	;; [unrolled: 1-line block ×3, first 2 shown]
	v_fmac_f32_e32 v22, v21, v17
	v_fmac_f32_e32 v19, v24, v16
	v_fma_f32 v24, -v6, v20, v7
	v_fmac_f32_e32 v23, v25, v18
	v_fma_f32 v6, -v12, v22, v13
	v_fma_f32 v7, -v14, v23, v15
	v_div_fmas_f32 v6, v6, v17, v22
	s_mov_b64 vcc, s[8:9]
	v_fma_f32 v9, -v9, v19, v10
	v_div_fixup_f32 v6, v6, v4, v5
	v_div_fmas_f32 v5, v7, v18, v23
	s_mov_b64 vcc, s[6:7]
	v_div_fixup_f32 v7, v5, v4, -s15
	v_div_fmas_f32 v4, v9, v16, v19
	s_mov_b64 vcc, s[4:5]
	v_div_fmas_f32 v5, v24, v11, v20
	v_div_fixup_f32 v4, v4, v3, v8
	v_div_fixup_f32 v5, v5, v3, -s15
	s_mov_b64 vcc, s[2:3]
	ds_write_b64 v2, v[6:7]
	global_store_dwordx2 v2, v[4:5], s[24:25]
	s_cbranch_vccz .LBB14_25
; %bb.16:
	v_mov_b32_e32 v4, 1.0
	global_store_dword v2, v3, s[28:29]
	global_store_dword v2, v4, s[10:11]
	s_cbranch_execnz .LBB14_18
.LBB14_17:
	v_mov_b32_e32 v2, 0
	global_store_dword v2, v3, s[10:11]
.LBB14_18:
	s_mov_b64 s[4:5], -1
.LBB14_19:
	s_andn2_b64 vcc, exec, s[4:5]
	s_cbranch_vccnz .LBB14_21
; %bb.20:
	v_mov_b32_e32 v2, 0
	global_store_dword v2, v2, s[10:11] offset:4
.LBB14_21:
	s_or_b64 exec, exec, s[16:17]
	s_waitcnt lgkmcnt(0)
	s_barrier
	s_and_saveexec_b64 s[2:3], s[0:1]
	s_cbranch_execz .LBB14_24
; %bb.22:
	v_mad_u64_u32 v[6:7], s[2:3], s22, v0, 0
	v_mov_b32_e32 v8, v7
	s_add_i32 s15, s36, s33
	v_mad_u64_u32 v[8:9], s[2:3], s23, v0, v[8:9]
	v_mov_b32_e32 v2, 0
	s_lshl_b64 s[0:1], s[14:15], 3
	s_lshl_b64 s[2:3], s[20:21], 3
	ds_read_b64 v[2:3], v2
	s_add_u32 s2, s18, s2
	s_addc_u32 s3, s19, s3
	s_add_u32 s0, s2, s0
	v_mov_b32_e32 v7, v8
	s_addc_u32 s1, s3, s1
	v_lshl_add_u64 v[6:7], v[6:7], 3, s[0:1]
	s_waitcnt lgkmcnt(0)
	v_mov_b32_e32 v4, v3
	v_mov_b32_e32 v5, v2
	v_lshl_add_u64 v[6:7], v[6:7], 0, 4
	s_lshl_b64 s[0:1], s[22:23], 13
	s_mov_b64 s[2:3], 0
	s_mov_b64 s[4:5], 0x400
.LBB14_23:                              ; =>This Inner Loop Header: Depth=1
	global_load_dwordx2 v[8:9], v[6:7], off offset:-4
	v_lshl_add_u64 v[0:1], v[0:1], 0, s[4:5]
	v_cmp_le_i64_e32 vcc, s[12:13], v[0:1]
	s_or_b64 s[2:3], vcc, s[2:3]
	s_waitcnt vmcnt(0)
	v_pk_mul_f32 v[10:11], v[4:5], v[8:9] op_sel:[0,1]
	s_nop 0
	v_pk_fma_f32 v[12:13], v[2:3], v[8:9], v[10:11] neg_lo:[0,0,1] neg_hi:[0,0,1]
	v_pk_fma_f32 v[8:9], v[2:3], v[8:9], v[10:11] op_sel_hi:[1,0,1]
	s_nop 0
	v_mov_b32_e32 v13, v9
	global_store_dwordx2 v[6:7], v[12:13], off offset:-4
	v_lshl_add_u64 v[6:7], v[6:7], 0, s[0:1]
	s_andn2_b64 exec, exec, s[2:3]
	s_cbranch_execnz .LBB14_23
.LBB14_24:
	s_endpgm
.LBB14_25:
	s_branch .LBB14_17
	.section	.rodata,"a",@progbits
	.p2align	6, 0x0
	.amdhsa_kernel _ZN9rocsolver6v33100L18larfg_kernel_smallILi1024E19rocblas_complex_numIfElfPS3_EEvT1_T3_llPT2_llS6_lS5_lPT0_l
		.amdhsa_group_segment_fixed_size 128
		.amdhsa_private_segment_fixed_size 0
		.amdhsa_kernarg_size 104
		.amdhsa_user_sgpr_count 2
		.amdhsa_user_sgpr_dispatch_ptr 0
		.amdhsa_user_sgpr_queue_ptr 0
		.amdhsa_user_sgpr_kernarg_segment_ptr 1
		.amdhsa_user_sgpr_dispatch_id 0
		.amdhsa_user_sgpr_kernarg_preload_length 0
		.amdhsa_user_sgpr_kernarg_preload_offset 0
		.amdhsa_user_sgpr_private_segment_size 0
		.amdhsa_uses_dynamic_stack 0
		.amdhsa_enable_private_segment 0
		.amdhsa_system_sgpr_workgroup_id_x 1
		.amdhsa_system_sgpr_workgroup_id_y 0
		.amdhsa_system_sgpr_workgroup_id_z 1
		.amdhsa_system_sgpr_workgroup_info 0
		.amdhsa_system_vgpr_workitem_id 0
		.amdhsa_next_free_vgpr 26
		.amdhsa_next_free_sgpr 37
		.amdhsa_accum_offset 28
		.amdhsa_reserve_vcc 1
		.amdhsa_float_round_mode_32 0
		.amdhsa_float_round_mode_16_64 0
		.amdhsa_float_denorm_mode_32 3
		.amdhsa_float_denorm_mode_16_64 3
		.amdhsa_dx10_clamp 1
		.amdhsa_ieee_mode 1
		.amdhsa_fp16_overflow 0
		.amdhsa_tg_split 0
		.amdhsa_exception_fp_ieee_invalid_op 0
		.amdhsa_exception_fp_denorm_src 0
		.amdhsa_exception_fp_ieee_div_zero 0
		.amdhsa_exception_fp_ieee_overflow 0
		.amdhsa_exception_fp_ieee_underflow 0
		.amdhsa_exception_fp_ieee_inexact 0
		.amdhsa_exception_int_div_zero 0
	.end_amdhsa_kernel
	.section	.text._ZN9rocsolver6v33100L18larfg_kernel_smallILi1024E19rocblas_complex_numIfElfPS3_EEvT1_T3_llPT2_llS6_lS5_lPT0_l,"axG",@progbits,_ZN9rocsolver6v33100L18larfg_kernel_smallILi1024E19rocblas_complex_numIfElfPS3_EEvT1_T3_llPT2_llS6_lS5_lPT0_l,comdat
.Lfunc_end14:
	.size	_ZN9rocsolver6v33100L18larfg_kernel_smallILi1024E19rocblas_complex_numIfElfPS3_EEvT1_T3_llPT2_llS6_lS5_lPT0_l, .Lfunc_end14-_ZN9rocsolver6v33100L18larfg_kernel_smallILi1024E19rocblas_complex_numIfElfPS3_EEvT1_T3_llPT2_llS6_lS5_lPT0_l
                                        ; -- End function
	.set _ZN9rocsolver6v33100L18larfg_kernel_smallILi1024E19rocblas_complex_numIfElfPS3_EEvT1_T3_llPT2_llS6_lS5_lPT0_l.num_vgpr, 26
	.set _ZN9rocsolver6v33100L18larfg_kernel_smallILi1024E19rocblas_complex_numIfElfPS3_EEvT1_T3_llPT2_llS6_lS5_lPT0_l.num_agpr, 0
	.set _ZN9rocsolver6v33100L18larfg_kernel_smallILi1024E19rocblas_complex_numIfElfPS3_EEvT1_T3_llPT2_llS6_lS5_lPT0_l.numbered_sgpr, 37
	.set _ZN9rocsolver6v33100L18larfg_kernel_smallILi1024E19rocblas_complex_numIfElfPS3_EEvT1_T3_llPT2_llS6_lS5_lPT0_l.num_named_barrier, 0
	.set _ZN9rocsolver6v33100L18larfg_kernel_smallILi1024E19rocblas_complex_numIfElfPS3_EEvT1_T3_llPT2_llS6_lS5_lPT0_l.private_seg_size, 0
	.set _ZN9rocsolver6v33100L18larfg_kernel_smallILi1024E19rocblas_complex_numIfElfPS3_EEvT1_T3_llPT2_llS6_lS5_lPT0_l.uses_vcc, 1
	.set _ZN9rocsolver6v33100L18larfg_kernel_smallILi1024E19rocblas_complex_numIfElfPS3_EEvT1_T3_llPT2_llS6_lS5_lPT0_l.uses_flat_scratch, 0
	.set _ZN9rocsolver6v33100L18larfg_kernel_smallILi1024E19rocblas_complex_numIfElfPS3_EEvT1_T3_llPT2_llS6_lS5_lPT0_l.has_dyn_sized_stack, 0
	.set _ZN9rocsolver6v33100L18larfg_kernel_smallILi1024E19rocblas_complex_numIfElfPS3_EEvT1_T3_llPT2_llS6_lS5_lPT0_l.has_recursion, 0
	.set _ZN9rocsolver6v33100L18larfg_kernel_smallILi1024E19rocblas_complex_numIfElfPS3_EEvT1_T3_llPT2_llS6_lS5_lPT0_l.has_indirect_call, 0
	.section	.AMDGPU.csdata,"",@progbits
; Kernel info:
; codeLenInByte = 1952
; TotalNumSgprs: 43
; NumVgprs: 26
; NumAgprs: 0
; TotalNumVgprs: 26
; ScratchSize: 0
; MemoryBound: 0
; FloatMode: 240
; IeeeMode: 1
; LDSByteSize: 128 bytes/workgroup (compile time only)
; SGPRBlocks: 5
; VGPRBlocks: 3
; NumSGPRsForWavesPerEU: 43
; NumVGPRsForWavesPerEU: 26
; AccumOffset: 28
; Occupancy: 8
; WaveLimiterHint : 0
; COMPUTE_PGM_RSRC2:SCRATCH_EN: 0
; COMPUTE_PGM_RSRC2:USER_SGPR: 2
; COMPUTE_PGM_RSRC2:TRAP_HANDLER: 0
; COMPUTE_PGM_RSRC2:TGID_X_EN: 1
; COMPUTE_PGM_RSRC2:TGID_Y_EN: 0
; COMPUTE_PGM_RSRC2:TGID_Z_EN: 1
; COMPUTE_PGM_RSRC2:TIDIG_COMP_CNT: 0
; COMPUTE_PGM_RSRC3_GFX90A:ACCUM_OFFSET: 6
; COMPUTE_PGM_RSRC3_GFX90A:TG_SPLIT: 0
	.section	.text._ZN9rocsolver6v33100L18larfg_kernel_smallILi64E19rocblas_complex_numIfElfPKPS3_EEvT1_T3_llPT2_llS8_lS7_lPT0_l,"axG",@progbits,_ZN9rocsolver6v33100L18larfg_kernel_smallILi64E19rocblas_complex_numIfElfPKPS3_EEvT1_T3_llPT2_llS8_lS7_lPT0_l,comdat
	.globl	_ZN9rocsolver6v33100L18larfg_kernel_smallILi64E19rocblas_complex_numIfElfPKPS3_EEvT1_T3_llPT2_llS8_lS7_lPT0_l ; -- Begin function _ZN9rocsolver6v33100L18larfg_kernel_smallILi64E19rocblas_complex_numIfElfPKPS3_EEvT1_T3_llPT2_llS8_lS7_lPT0_l
	.p2align	8
	.type	_ZN9rocsolver6v33100L18larfg_kernel_smallILi64E19rocblas_complex_numIfElfPKPS3_EEvT1_T3_llPT2_llS8_lS7_lPT0_l,@function
_ZN9rocsolver6v33100L18larfg_kernel_smallILi64E19rocblas_complex_numIfElfPKPS3_EEvT1_T3_llPT2_llS8_lS7_lPT0_l: ; @_ZN9rocsolver6v33100L18larfg_kernel_smallILi64E19rocblas_complex_numIfElfPKPS3_EEvT1_T3_llPT2_llS8_lS7_lPT0_l
; %bb.0:
	s_mov_b32 s24, s3
	s_load_dwordx4 s[16:19], s[0:1], 0x0
	s_load_dwordx2 s[22:23], s[0:1], 0x10
	s_load_dwordx8 s[4:11], s[0:1], 0x20
	s_load_dwordx4 s[12:15], s[0:1], 0x40
	s_mov_b32 s25, 0
	s_lshl_b64 s[20:21], s[24:25], 3
	s_waitcnt lgkmcnt(0)
	s_add_u32 s2, s18, s20
	s_addc_u32 s3, s19, s21
	s_add_u32 s10, s10, s20
	s_addc_u32 s11, s11, s21
	s_load_dwordx2 s[18:19], s[10:11], 0x0
	s_cmp_eq_u64 s[4:5], 0
	s_mov_b64 s[20:21], 0
	s_cbranch_scc1 .LBB15_2
; %bb.1:
	s_mul_i32 s9, s9, s24
	s_mul_hi_u32 s10, s8, s24
	s_add_i32 s9, s10, s9
	s_mul_i32 s8, s8, s24
	s_lshl_b64 s[8:9], s[8:9], 2
	s_add_u32 s8, s4, s8
	s_addc_u32 s9, s5, s9
	s_lshl_b64 s[4:5], s[6:7], 2
	s_add_u32 s20, s8, s4
	s_addc_u32 s21, s9, s5
.LBB15_2:
	s_load_dwordx2 s[4:5], s[2:3], 0x0
	s_add_u32 s10, s16, -1
	v_mov_b32_e32 v1, 0
	s_addc_u32 s11, s17, -1
	v_cmp_gt_i64_e64 s[2:3], s[10:11], v[0:1]
	v_mov_b32_e32 v3, v1
	v_mov_b32_e32 v2, v1
	s_and_saveexec_b64 s[6:7], s[2:3]
	s_cbranch_execz .LBB15_6
; %bb.3:
	v_mad_u64_u32 v[2:3], s[8:9], s14, v0, 0
	v_mov_b32_e32 v4, v3
	v_mad_u64_u32 v[4:5], s[8:9], s15, v0, v[4:5]
	s_lshl_b64 s[8:9], s[12:13], 3
	s_waitcnt lgkmcnt(0)
	s_add_u32 s8, s18, s8
	v_mov_b32_e32 v3, v4
	s_addc_u32 s9, s19, s9
	v_lshl_add_u64 v[4:5], v[2:3], 3, s[8:9]
	v_mov_b32_e32 v2, 0
	s_lshl_b64 s[8:9], s[14:15], 9
	s_mov_b64 s[16:17], 0
	v_mov_b64_e32 v[6:7], v[0:1]
	v_mov_b32_e32 v3, v2
.LBB15_4:                               ; =>This Inner Loop Header: Depth=1
	flat_load_dwordx2 v[8:9], v[4:5]
	v_lshl_add_u64 v[6:7], v[6:7], 0, 64
	v_cmp_le_i64_e32 vcc, s[10:11], v[6:7]
	v_lshl_add_u64 v[4:5], v[4:5], 0, s[8:9]
	s_or_b64 s[16:17], vcc, s[16:17]
	s_waitcnt vmcnt(0) lgkmcnt(0)
	v_pk_mul_f32 v[10:11], v[8:9], v[8:9] op_sel:[1,1] op_sel_hi:[0,1]
	v_pk_fma_f32 v[12:13], v[8:9], v[8:9], v[10:11]
	v_pk_fma_f32 v[8:9], v[8:9], v[8:9], v[10:11] op_sel_hi:[0,1,1] neg_lo:[0,0,1] neg_hi:[0,0,1]
	v_mov_b32_e32 v13, v9
	v_pk_add_f32 v[2:3], v[2:3], v[12:13]
	s_andn2_b64 exec, exec, s[16:17]
	s_cbranch_execnz .LBB15_4
; %bb.5:
	s_or_b64 exec, exec, s[16:17]
.LBB15_6:
	s_or_b64 exec, exec, s[6:7]
	v_mbcnt_lo_u32_b32 v4, -1, 0
	v_mbcnt_hi_u32_b32 v6, -1, v4
	v_and_b32_e32 v7, 63, v6
	v_cmp_ne_u32_e32 vcc, 63, v7
	s_nop 1
	v_addc_co_u32_e32 v4, vcc, 0, v6, vcc
	v_lshlrev_b32_e32 v5, 2, v4
	ds_bpermute_b32 v4, v5, v2
	ds_bpermute_b32 v5, v5, v3
	v_cmp_gt_u32_e32 vcc, 62, v7
	s_waitcnt lgkmcnt(0)
	v_pk_add_f32 v[2:3], v[2:3], v[4:5]
	v_cndmask_b32_e64 v8, 0, 2, vcc
	v_add_lshl_u32 v8, v8, v6, 2
	ds_bpermute_b32 v4, v8, v2
	ds_bpermute_b32 v5, v8, v3
	v_cmp_gt_u32_e32 vcc, 60, v7
	s_waitcnt lgkmcnt(0)
	v_pk_add_f32 v[2:3], v[2:3], v[4:5]
	v_cndmask_b32_e64 v8, 0, 4, vcc
	v_add_lshl_u32 v8, v8, v6, 2
	;; [unrolled: 7-line block ×4, first 2 shown]
	ds_bpermute_b32 v4, v7, v2
	ds_bpermute_b32 v5, v7, v3
	v_mov_b32_e32 v7, 0x80
	v_lshl_or_b32 v6, v6, 2, v7
	v_cmp_eq_u32_e32 vcc, 0, v0
	s_waitcnt lgkmcnt(0)
	v_pk_add_f32 v[2:3], v[2:3], v[4:5]
	ds_bpermute_b32 v4, v6, v2
	ds_bpermute_b32 v5, v6, v3
	s_waitcnt lgkmcnt(0)
	v_pk_add_f32 v[2:3], v[2:3], v[4:5]
	s_and_saveexec_b64 s[6:7], vcc
; %bb.7:
	v_lshrrev_b32_e32 v4, 3, v0
	ds_write2_b32 v4, v2, v3 offset1:1
; %bb.8:
	s_or_b64 exec, exec, s[6:7]
	v_cmp_eq_u32_e32 vcc, 0, v0
	s_waitcnt lgkmcnt(0)
	; wave barrier
	s_and_saveexec_b64 s[6:7], vcc
; %bb.9:
	v_mov_b32_e32 v4, 0
	ds_write_b64 v4, v[2:3]
; %bb.10:
	s_or_b64 exec, exec, s[6:7]
	s_waitcnt lgkmcnt(0)
	; wave barrier
	s_and_saveexec_b64 s[16:17], vcc
	s_cbranch_execz .LBB15_16
; %bb.11:
	s_lshl_b64 s[6:7], s[22:23], 3
	s_add_u32 s22, s4, s6
	s_addc_u32 s23, s5, s7
	v_mov_b64_e32 v[2:3], s[22:23]
	flat_load_dword v2, v[2:3] offset:4
	s_load_dwordx4 s[4:7], s[0:1], 0x58
	v_mov_b32_e32 v3, 0
	ds_read_b32 v5, v3
	s_mov_b64 s[26:27], 0
	s_waitcnt lgkmcnt(0)
	s_mul_i32 s1, s7, s24
	s_mul_hi_u32 s7, s6, s24
	s_mul_i32 s0, s6, s24
	s_add_i32 s1, s7, s1
	s_lshl_b64 s[0:1], s[0:1], 3
	s_add_u32 s24, s4, s0
	s_addc_u32 s25, s5, s1
	v_max_f32_e32 v6, v5, v5
	s_cmp_lg_u64 s[20:21], 0
	s_cselect_b64 s[0:1], -1, 0
	s_waitcnt vmcnt(0)
	v_mul_f32_e32 v4, v2, v2
	v_max_f32_e32 v6, v6, v4
	v_cmp_nlt_f32_e32 vcc, 0, v6
	s_and_saveexec_b64 s[4:5], vcc
	s_xor_b64 s[4:5], exec, s[4:5]
	s_cbranch_execz .LBB15_20
; %bb.12:
	v_mov_b32_e32 v2, 1.0
	v_mov_b32_e32 v4, v3
	v_mov_b32_e32 v5, v3
	s_and_b64 vcc, exec, s[0:1]
	ds_write_b64 v3, v[2:3]
	global_store_dwordx2 v3, v[4:5], s[24:25]
	s_cbranch_vccz .LBB15_25
; %bb.13:
	v_mov_b64_e32 v[4:5], s[22:23]
	flat_load_dword v3, v[4:5]
	v_mov_b32_e32 v6, 0
	s_mov_b64 s[6:7], -1
	s_waitcnt vmcnt(0) lgkmcnt(0)
	global_store_dword v6, v3, s[20:21]
	flat_store_dword v[4:5], v2
	s_and_b64 s[26:27], s[6:7], exec
                                        ; implicit-def: $vgpr4
                                        ; implicit-def: $vgpr5
                                        ; implicit-def: $vgpr2
	s_andn2_saveexec_b64 s[28:29], s[4:5]
	s_cbranch_execnz .LBB15_21
.LBB15_14:
	s_or_b64 exec, exec, s[28:29]
	s_and_b64 exec, exec, s[26:27]
	s_cbranch_execz .LBB15_16
.LBB15_15:
	v_mov_b32_e32 v4, 0
	v_mov_b64_e32 v[2:3], s[22:23]
	flat_store_dword v[2:3], v4 offset:4
.LBB15_16:
	s_or_b64 exec, exec, s[16:17]
	s_waitcnt lgkmcnt(0)
	; wave barrier
	s_and_saveexec_b64 s[0:1], s[2:3]
	s_cbranch_execz .LBB15_19
; %bb.17:
	v_mov_b32_e32 v2, 0
	v_mad_u64_u32 v[6:7], s[0:1], s14, v0, 0
	ds_read_b64 v[2:3], v2
	v_mov_b32_e32 v8, v7
	v_mad_u64_u32 v[8:9], s[0:1], s15, v0, v[8:9]
	s_lshl_b64 s[0:1], s[12:13], 3
	s_add_u32 s0, s18, s0
	v_mov_b32_e32 v7, v8
	s_addc_u32 s1, s19, s1
	s_waitcnt lgkmcnt(0)
	v_mov_b32_e32 v4, v3
	v_mov_b32_e32 v5, v2
	v_lshl_add_u64 v[6:7], v[6:7], 3, s[0:1]
	s_lshl_b64 s[0:1], s[14:15], 9
	s_mov_b64 s[2:3], 0
.LBB15_18:                              ; =>This Inner Loop Header: Depth=1
	flat_load_dwordx2 v[8:9], v[6:7]
	v_lshl_add_u64 v[0:1], v[0:1], 0, 64
	v_cmp_le_i64_e32 vcc, s[10:11], v[0:1]
	s_or_b64 s[2:3], vcc, s[2:3]
	s_waitcnt vmcnt(0) lgkmcnt(0)
	v_pk_mul_f32 v[10:11], v[4:5], v[8:9] op_sel:[0,1]
	s_nop 0
	v_pk_fma_f32 v[12:13], v[2:3], v[8:9], v[10:11] neg_lo:[0,0,1] neg_hi:[0,0,1]
	v_pk_fma_f32 v[8:9], v[2:3], v[8:9], v[10:11] op_sel_hi:[1,0,1]
	s_nop 0
	v_mov_b32_e32 v13, v9
	flat_store_dwordx2 v[6:7], v[12:13]
	v_lshl_add_u64 v[6:7], v[6:7], 0, s[0:1]
	s_andn2_b64 exec, exec, s[2:3]
	s_cbranch_execnz .LBB15_18
.LBB15_19:
	s_endpgm
.LBB15_20:
	s_andn2_saveexec_b64 s[28:29], s[4:5]
	s_cbranch_execz .LBB15_14
.LBB15_21:
	v_mov_b64_e32 v[6:7], s[22:23]
	flat_load_dword v6, v[6:7]
	s_mov_b32 s4, 0xf800000
	v_mov_b32_e32 v8, 0x260
	s_and_b64 s[0:1], exec, s[0:1]
	s_waitcnt vmcnt(0) lgkmcnt(0)
	v_fma_f32 v3, v6, v6, v4
	v_add_f32_e32 v3, v5, v3
	v_mul_f32_e32 v5, 0x4f800000, v3
	v_cmp_gt_f32_e32 vcc, s4, v3
	s_nop 1
	v_cndmask_b32_e32 v5, v3, v5, vcc
	v_sqrt_f32_e32 v7, v5
	v_mov_b32_e32 v3, 0
	v_add_u32_e32 v9, -1, v7
	v_add_u32_e32 v10, 1, v7
	v_fma_f32 v11, -v9, v7, v5
	v_fma_f32 v12, -v10, v7, v5
	v_cmp_ge_f32_e64 s[4:5], 0, v11
	s_nop 1
	v_cndmask_b32_e64 v7, v7, v9, s[4:5]
	v_cmp_lt_f32_e64 s[4:5], 0, v12
	s_nop 1
	v_cndmask_b32_e64 v7, v7, v10, s[4:5]
	v_mul_f32_e32 v9, 0x37800000, v7
	v_cndmask_b32_e32 v7, v7, v9, vcc
	v_cmp_class_f32_e32 vcc, v5, v8
	s_nop 1
	v_cndmask_b32_e32 v5, v7, v5, vcc
	v_cmp_le_f32_e32 vcc, 0, v6
	s_nop 1
	v_cndmask_b32_e64 v5, v5, -v5, vcc
	v_sub_f32_e32 v7, v6, v5
	v_sub_f32_e32 v8, v5, v6
	v_div_scale_f32 v6, s[4:5], v5, v5, -v2
	v_fmac_f32_e32 v4, v7, v7
	v_div_scale_f32 v10, s[6:7], v5, v5, v8
	v_rcp_f32_e32 v12, v6
	v_div_scale_f32 v13, s[8:9], v4, v4, v7
	v_div_scale_f32 v15, s[8:9], v4, v4, -v2
	v_rcp_f32_e32 v17, v10
	v_rcp_f32_e32 v18, v13
	;; [unrolled: 1-line block ×3, first 2 shown]
	v_fma_f32 v20, -v6, v12, 1.0
	v_div_scale_f32 v9, s[4:5], -v2, v5, -v2
	v_fma_f32 v21, -v10, v17, 1.0
	v_fmac_f32_e32 v12, v20, v12
	v_fma_f32 v20, -v13, v18, 1.0
	v_div_scale_f32 v14, vcc, v7, v4, v7
	v_fma_f32 v22, -v15, v19, 1.0
	v_fmac_f32_e32 v17, v21, v17
	v_mul_f32_e32 v21, v9, v12
	v_fmac_f32_e32 v18, v20, v18
	v_div_scale_f32 v11, s[6:7], v8, v5, v8
	v_div_scale_f32 v16, s[8:9], -v2, v4, -v2
	v_fmac_f32_e32 v19, v22, v19
	v_fma_f32 v22, -v6, v21, v9
	v_mul_f32_e32 v23, v14, v18
	v_mul_f32_e32 v20, v11, v17
	;; [unrolled: 1-line block ×3, first 2 shown]
	v_fmac_f32_e32 v21, v22, v12
	v_fma_f32 v22, -v13, v23, v14
	v_fma_f32 v25, -v10, v20, v11
	v_fma_f32 v26, -v15, v24, v16
	v_fmac_f32_e32 v23, v22, v18
	v_fmac_f32_e32 v20, v25, v17
	v_fma_f32 v9, -v6, v21, v9
	v_fmac_f32_e32 v24, v26, v19
	v_fma_f32 v6, -v13, v23, v14
	v_fma_f32 v10, -v10, v20, v11
	;; [unrolled: 1-line block ×3, first 2 shown]
	v_div_fmas_f32 v6, v6, v18, v23
	s_mov_b64 vcc, s[8:9]
	v_div_fixup_f32 v6, v6, v4, v7
	v_div_fmas_f32 v7, v11, v19, v24
	s_mov_b64 vcc, s[6:7]
	v_div_fixup_f32 v7, v7, v4, -v2
	v_div_fmas_f32 v4, v10, v17, v20
	s_mov_b64 vcc, s[4:5]
	ds_write_b64 v3, v[6:7]
	v_div_fixup_f32 v6, v4, v5, v8
	v_div_fmas_f32 v4, v9, v12, v21
	v_div_fixup_f32 v7, v4, v5, -v2
	s_mov_b64 vcc, s[0:1]
	global_store_dwordx2 v3, v[6:7], s[24:25]
	s_cbranch_vccz .LBB15_26
; %bb.22:
	global_store_dword v3, v5, s[20:21]
	v_mov_b32_e32 v4, 1.0
	v_mov_b64_e32 v[2:3], s[22:23]
	flat_store_dword v[2:3], v4
	s_cbranch_execnz .LBB15_24
.LBB15_23:
	v_mov_b64_e32 v[2:3], s[22:23]
	flat_store_dword v[2:3], v5
.LBB15_24:
	s_or_b64 s[26:27], s[26:27], exec
	s_or_b64 exec, exec, s[28:29]
	s_and_b64 exec, exec, s[26:27]
	s_cbranch_execnz .LBB15_15
	s_branch .LBB15_16
.LBB15_25:
	s_mov_b64 s[6:7], 0
	s_and_b64 s[26:27], s[6:7], exec
                                        ; implicit-def: $vgpr4
                                        ; implicit-def: $vgpr5
                                        ; implicit-def: $vgpr2
	s_andn2_saveexec_b64 s[28:29], s[4:5]
	s_cbranch_execz .LBB15_14
	s_branch .LBB15_21
.LBB15_26:
	s_branch .LBB15_23
	.section	.rodata,"a",@progbits
	.p2align	6, 0x0
	.amdhsa_kernel _ZN9rocsolver6v33100L18larfg_kernel_smallILi64E19rocblas_complex_numIfElfPKPS3_EEvT1_T3_llPT2_llS8_lS7_lPT0_l
		.amdhsa_group_segment_fixed_size 8
		.amdhsa_private_segment_fixed_size 0
		.amdhsa_kernarg_size 104
		.amdhsa_user_sgpr_count 2
		.amdhsa_user_sgpr_dispatch_ptr 0
		.amdhsa_user_sgpr_queue_ptr 0
		.amdhsa_user_sgpr_kernarg_segment_ptr 1
		.amdhsa_user_sgpr_dispatch_id 0
		.amdhsa_user_sgpr_kernarg_preload_length 0
		.amdhsa_user_sgpr_kernarg_preload_offset 0
		.amdhsa_user_sgpr_private_segment_size 0
		.amdhsa_uses_dynamic_stack 0
		.amdhsa_enable_private_segment 0
		.amdhsa_system_sgpr_workgroup_id_x 1
		.amdhsa_system_sgpr_workgroup_id_y 0
		.amdhsa_system_sgpr_workgroup_id_z 1
		.amdhsa_system_sgpr_workgroup_info 0
		.amdhsa_system_vgpr_workitem_id 0
		.amdhsa_next_free_vgpr 27
		.amdhsa_next_free_sgpr 30
		.amdhsa_accum_offset 28
		.amdhsa_reserve_vcc 1
		.amdhsa_float_round_mode_32 0
		.amdhsa_float_round_mode_16_64 0
		.amdhsa_float_denorm_mode_32 3
		.amdhsa_float_denorm_mode_16_64 3
		.amdhsa_dx10_clamp 1
		.amdhsa_ieee_mode 1
		.amdhsa_fp16_overflow 0
		.amdhsa_tg_split 0
		.amdhsa_exception_fp_ieee_invalid_op 0
		.amdhsa_exception_fp_denorm_src 0
		.amdhsa_exception_fp_ieee_div_zero 0
		.amdhsa_exception_fp_ieee_overflow 0
		.amdhsa_exception_fp_ieee_underflow 0
		.amdhsa_exception_fp_ieee_inexact 0
		.amdhsa_exception_int_div_zero 0
	.end_amdhsa_kernel
	.section	.text._ZN9rocsolver6v33100L18larfg_kernel_smallILi64E19rocblas_complex_numIfElfPKPS3_EEvT1_T3_llPT2_llS8_lS7_lPT0_l,"axG",@progbits,_ZN9rocsolver6v33100L18larfg_kernel_smallILi64E19rocblas_complex_numIfElfPKPS3_EEvT1_T3_llPT2_llS8_lS7_lPT0_l,comdat
.Lfunc_end15:
	.size	_ZN9rocsolver6v33100L18larfg_kernel_smallILi64E19rocblas_complex_numIfElfPKPS3_EEvT1_T3_llPT2_llS8_lS7_lPT0_l, .Lfunc_end15-_ZN9rocsolver6v33100L18larfg_kernel_smallILi64E19rocblas_complex_numIfElfPKPS3_EEvT1_T3_llPT2_llS8_lS7_lPT0_l
                                        ; -- End function
	.set _ZN9rocsolver6v33100L18larfg_kernel_smallILi64E19rocblas_complex_numIfElfPKPS3_EEvT1_T3_llPT2_llS8_lS7_lPT0_l.num_vgpr, 27
	.set _ZN9rocsolver6v33100L18larfg_kernel_smallILi64E19rocblas_complex_numIfElfPKPS3_EEvT1_T3_llPT2_llS8_lS7_lPT0_l.num_agpr, 0
	.set _ZN9rocsolver6v33100L18larfg_kernel_smallILi64E19rocblas_complex_numIfElfPKPS3_EEvT1_T3_llPT2_llS8_lS7_lPT0_l.numbered_sgpr, 30
	.set _ZN9rocsolver6v33100L18larfg_kernel_smallILi64E19rocblas_complex_numIfElfPKPS3_EEvT1_T3_llPT2_llS8_lS7_lPT0_l.num_named_barrier, 0
	.set _ZN9rocsolver6v33100L18larfg_kernel_smallILi64E19rocblas_complex_numIfElfPKPS3_EEvT1_T3_llPT2_llS8_lS7_lPT0_l.private_seg_size, 0
	.set _ZN9rocsolver6v33100L18larfg_kernel_smallILi64E19rocblas_complex_numIfElfPKPS3_EEvT1_T3_llPT2_llS8_lS7_lPT0_l.uses_vcc, 1
	.set _ZN9rocsolver6v33100L18larfg_kernel_smallILi64E19rocblas_complex_numIfElfPKPS3_EEvT1_T3_llPT2_llS8_lS7_lPT0_l.uses_flat_scratch, 0
	.set _ZN9rocsolver6v33100L18larfg_kernel_smallILi64E19rocblas_complex_numIfElfPKPS3_EEvT1_T3_llPT2_llS8_lS7_lPT0_l.has_dyn_sized_stack, 0
	.set _ZN9rocsolver6v33100L18larfg_kernel_smallILi64E19rocblas_complex_numIfElfPKPS3_EEvT1_T3_llPT2_llS8_lS7_lPT0_l.has_recursion, 0
	.set _ZN9rocsolver6v33100L18larfg_kernel_smallILi64E19rocblas_complex_numIfElfPKPS3_EEvT1_T3_llPT2_llS8_lS7_lPT0_l.has_indirect_call, 0
	.section	.AMDGPU.csdata,"",@progbits
; Kernel info:
; codeLenInByte = 1716
; TotalNumSgprs: 36
; NumVgprs: 27
; NumAgprs: 0
; TotalNumVgprs: 27
; ScratchSize: 0
; MemoryBound: 0
; FloatMode: 240
; IeeeMode: 1
; LDSByteSize: 8 bytes/workgroup (compile time only)
; SGPRBlocks: 4
; VGPRBlocks: 3
; NumSGPRsForWavesPerEU: 36
; NumVGPRsForWavesPerEU: 27
; AccumOffset: 28
; Occupancy: 8
; WaveLimiterHint : 1
; COMPUTE_PGM_RSRC2:SCRATCH_EN: 0
; COMPUTE_PGM_RSRC2:USER_SGPR: 2
; COMPUTE_PGM_RSRC2:TRAP_HANDLER: 0
; COMPUTE_PGM_RSRC2:TGID_X_EN: 1
; COMPUTE_PGM_RSRC2:TGID_Y_EN: 0
; COMPUTE_PGM_RSRC2:TGID_Z_EN: 1
; COMPUTE_PGM_RSRC2:TIDIG_COMP_CNT: 0
; COMPUTE_PGM_RSRC3_GFX90A:ACCUM_OFFSET: 6
; COMPUTE_PGM_RSRC3_GFX90A:TG_SPLIT: 0
	.section	.text._ZN9rocsolver6v33100L18larfg_kernel_smallILi128E19rocblas_complex_numIfElfPKPS3_EEvT1_T3_llPT2_llS8_lS7_lPT0_l,"axG",@progbits,_ZN9rocsolver6v33100L18larfg_kernel_smallILi128E19rocblas_complex_numIfElfPKPS3_EEvT1_T3_llPT2_llS8_lS7_lPT0_l,comdat
	.globl	_ZN9rocsolver6v33100L18larfg_kernel_smallILi128E19rocblas_complex_numIfElfPKPS3_EEvT1_T3_llPT2_llS8_lS7_lPT0_l ; -- Begin function _ZN9rocsolver6v33100L18larfg_kernel_smallILi128E19rocblas_complex_numIfElfPKPS3_EEvT1_T3_llPT2_llS8_lS7_lPT0_l
	.p2align	8
	.type	_ZN9rocsolver6v33100L18larfg_kernel_smallILi128E19rocblas_complex_numIfElfPKPS3_EEvT1_T3_llPT2_llS8_lS7_lPT0_l,@function
_ZN9rocsolver6v33100L18larfg_kernel_smallILi128E19rocblas_complex_numIfElfPKPS3_EEvT1_T3_llPT2_llS8_lS7_lPT0_l: ; @_ZN9rocsolver6v33100L18larfg_kernel_smallILi128E19rocblas_complex_numIfElfPKPS3_EEvT1_T3_llPT2_llS8_lS7_lPT0_l
; %bb.0:
	s_mov_b32 s24, s3
	s_load_dwordx4 s[16:19], s[0:1], 0x0
	s_load_dwordx2 s[22:23], s[0:1], 0x10
	s_load_dwordx8 s[4:11], s[0:1], 0x20
	s_load_dwordx4 s[12:15], s[0:1], 0x40
	s_mov_b32 s25, 0
	s_lshl_b64 s[20:21], s[24:25], 3
	s_waitcnt lgkmcnt(0)
	s_add_u32 s2, s18, s20
	s_addc_u32 s3, s19, s21
	s_add_u32 s10, s10, s20
	s_addc_u32 s11, s11, s21
	s_load_dwordx2 s[18:19], s[10:11], 0x0
	s_cmp_eq_u64 s[4:5], 0
	s_mov_b64 s[20:21], 0
	s_cbranch_scc1 .LBB16_2
; %bb.1:
	s_mul_i32 s9, s9, s24
	s_mul_hi_u32 s10, s8, s24
	s_add_i32 s9, s10, s9
	s_mul_i32 s8, s8, s24
	s_lshl_b64 s[8:9], s[8:9], 2
	s_add_u32 s8, s4, s8
	s_addc_u32 s9, s5, s9
	s_lshl_b64 s[4:5], s[6:7], 2
	s_add_u32 s20, s8, s4
	s_addc_u32 s21, s9, s5
.LBB16_2:
	s_load_dwordx2 s[4:5], s[2:3], 0x0
	s_add_u32 s10, s16, -1
	v_mov_b32_e32 v1, 0
	s_addc_u32 s11, s17, -1
	v_cmp_gt_i64_e64 s[2:3], s[10:11], v[0:1]
	v_mov_b32_e32 v3, v1
	v_mov_b32_e32 v2, v1
	s_and_saveexec_b64 s[6:7], s[2:3]
	s_cbranch_execz .LBB16_6
; %bb.3:
	v_mad_u64_u32 v[2:3], s[8:9], s14, v0, 0
	v_mov_b32_e32 v4, v3
	v_mad_u64_u32 v[4:5], s[8:9], s15, v0, v[4:5]
	s_lshl_b64 s[8:9], s[12:13], 3
	s_waitcnt lgkmcnt(0)
	s_add_u32 s8, s18, s8
	v_mov_b32_e32 v3, v4
	s_addc_u32 s9, s19, s9
	v_lshl_add_u64 v[4:5], v[2:3], 3, s[8:9]
	v_mov_b32_e32 v2, 0
	s_lshl_b64 s[8:9], s[14:15], 10
	s_mov_b64 s[16:17], 0
	s_mov_b64 s[26:27], 0x80
	v_mov_b64_e32 v[6:7], v[0:1]
	v_mov_b32_e32 v3, v2
.LBB16_4:                               ; =>This Inner Loop Header: Depth=1
	flat_load_dwordx2 v[8:9], v[4:5]
	v_lshl_add_u64 v[6:7], v[6:7], 0, s[26:27]
	v_cmp_le_i64_e32 vcc, s[10:11], v[6:7]
	v_lshl_add_u64 v[4:5], v[4:5], 0, s[8:9]
	s_or_b64 s[16:17], vcc, s[16:17]
	s_waitcnt vmcnt(0) lgkmcnt(0)
	v_pk_mul_f32 v[10:11], v[8:9], v[8:9] op_sel:[1,1] op_sel_hi:[0,1]
	v_pk_fma_f32 v[12:13], v[8:9], v[8:9], v[10:11]
	v_pk_fma_f32 v[8:9], v[8:9], v[8:9], v[10:11] op_sel_hi:[0,1,1] neg_lo:[0,0,1] neg_hi:[0,0,1]
	v_mov_b32_e32 v13, v9
	v_pk_add_f32 v[2:3], v[2:3], v[12:13]
	s_andn2_b64 exec, exec, s[16:17]
	s_cbranch_execnz .LBB16_4
; %bb.5:
	s_or_b64 exec, exec, s[16:17]
.LBB16_6:
	s_or_b64 exec, exec, s[6:7]
	v_mbcnt_lo_u32_b32 v4, -1, 0
	v_mbcnt_hi_u32_b32 v6, -1, v4
	v_and_b32_e32 v7, 63, v6
	v_cmp_ne_u32_e32 vcc, 63, v7
	s_nop 1
	v_addc_co_u32_e32 v4, vcc, 0, v6, vcc
	v_lshlrev_b32_e32 v5, 2, v4
	ds_bpermute_b32 v4, v5, v2
	ds_bpermute_b32 v5, v5, v3
	v_cmp_gt_u32_e32 vcc, 62, v7
	s_waitcnt lgkmcnt(0)
	v_pk_add_f32 v[2:3], v[2:3], v[4:5]
	v_cndmask_b32_e64 v8, 0, 2, vcc
	v_add_lshl_u32 v8, v8, v6, 2
	ds_bpermute_b32 v4, v8, v2
	ds_bpermute_b32 v5, v8, v3
	v_cmp_gt_u32_e32 vcc, 60, v7
	s_waitcnt lgkmcnt(0)
	v_pk_add_f32 v[2:3], v[2:3], v[4:5]
	v_cndmask_b32_e64 v8, 0, 4, vcc
	v_add_lshl_u32 v8, v8, v6, 2
	;; [unrolled: 7-line block ×4, first 2 shown]
	ds_bpermute_b32 v4, v7, v2
	ds_bpermute_b32 v5, v7, v3
	v_mov_b32_e32 v7, 0x80
	v_lshl_or_b32 v6, v6, 2, v7
	s_waitcnt lgkmcnt(0)
	v_pk_add_f32 v[2:3], v[2:3], v[4:5]
	ds_bpermute_b32 v4, v6, v2
	ds_bpermute_b32 v5, v6, v3
	v_and_b32_e32 v6, 63, v0
	v_cmp_eq_u32_e32 vcc, 0, v6
	s_waitcnt lgkmcnt(0)
	v_pk_add_f32 v[2:3], v[2:3], v[4:5]
	s_and_saveexec_b64 s[6:7], vcc
; %bb.7:
	v_lshrrev_b32_e32 v4, 3, v0
	ds_write_b64 v4, v[2:3]
; %bb.8:
	s_or_b64 exec, exec, s[6:7]
	v_cmp_eq_u32_e32 vcc, 0, v0
	s_waitcnt lgkmcnt(0)
	s_barrier
	s_and_saveexec_b64 s[6:7], vcc
	s_cbranch_execz .LBB16_10
; %bb.9:
	v_mov_b32_e32 v6, 0
	ds_read_b64 v[4:5], v6 offset:8
	s_waitcnt lgkmcnt(0)
	v_pk_add_f32 v[2:3], v[2:3], v[4:5]
	ds_write_b64 v6, v[2:3]
.LBB16_10:
	s_or_b64 exec, exec, s[6:7]
	s_waitcnt lgkmcnt(0)
	s_barrier
	s_and_saveexec_b64 s[16:17], vcc
	s_cbranch_execz .LBB16_16
; %bb.11:
	s_lshl_b64 s[6:7], s[22:23], 3
	s_add_u32 s22, s4, s6
	s_addc_u32 s23, s5, s7
	v_mov_b64_e32 v[2:3], s[22:23]
	flat_load_dword v2, v[2:3] offset:4
	s_load_dwordx4 s[4:7], s[0:1], 0x58
	v_mov_b32_e32 v3, 0
	ds_read_b32 v5, v3
	s_mov_b64 s[26:27], 0
	s_waitcnt lgkmcnt(0)
	s_mul_i32 s1, s7, s24
	s_mul_hi_u32 s7, s6, s24
	s_mul_i32 s0, s6, s24
	s_add_i32 s1, s7, s1
	s_lshl_b64 s[0:1], s[0:1], 3
	s_add_u32 s24, s4, s0
	s_addc_u32 s25, s5, s1
	v_max_f32_e32 v6, v5, v5
	s_cmp_lg_u64 s[20:21], 0
	s_cselect_b64 s[0:1], -1, 0
	s_waitcnt vmcnt(0)
	v_mul_f32_e32 v4, v2, v2
	v_max_f32_e32 v6, v6, v4
	v_cmp_nlt_f32_e32 vcc, 0, v6
	s_and_saveexec_b64 s[4:5], vcc
	s_xor_b64 s[4:5], exec, s[4:5]
	s_cbranch_execz .LBB16_20
; %bb.12:
	v_mov_b32_e32 v2, 1.0
	v_mov_b32_e32 v4, v3
	v_mov_b32_e32 v5, v3
	s_and_b64 vcc, exec, s[0:1]
	ds_write_b64 v3, v[2:3]
	global_store_dwordx2 v3, v[4:5], s[24:25]
	s_cbranch_vccz .LBB16_25
; %bb.13:
	v_mov_b64_e32 v[4:5], s[22:23]
	flat_load_dword v3, v[4:5]
	v_mov_b32_e32 v6, 0
	s_mov_b64 s[6:7], -1
	s_waitcnt vmcnt(0) lgkmcnt(0)
	global_store_dword v6, v3, s[20:21]
	flat_store_dword v[4:5], v2
	s_and_b64 s[26:27], s[6:7], exec
                                        ; implicit-def: $vgpr4
                                        ; implicit-def: $vgpr5
                                        ; implicit-def: $vgpr2
	s_andn2_saveexec_b64 s[28:29], s[4:5]
	s_cbranch_execnz .LBB16_21
.LBB16_14:
	s_or_b64 exec, exec, s[28:29]
	s_and_b64 exec, exec, s[26:27]
	s_cbranch_execz .LBB16_16
.LBB16_15:
	v_mov_b32_e32 v4, 0
	v_mov_b64_e32 v[2:3], s[22:23]
	flat_store_dword v[2:3], v4 offset:4
.LBB16_16:
	s_or_b64 exec, exec, s[16:17]
	s_waitcnt lgkmcnt(0)
	s_barrier
	s_and_saveexec_b64 s[0:1], s[2:3]
	s_cbranch_execz .LBB16_19
; %bb.17:
	v_mov_b32_e32 v2, 0
	v_mad_u64_u32 v[6:7], s[0:1], s14, v0, 0
	ds_read_b64 v[2:3], v2
	v_mov_b32_e32 v8, v7
	v_mad_u64_u32 v[8:9], s[0:1], s15, v0, v[8:9]
	s_lshl_b64 s[0:1], s[12:13], 3
	s_add_u32 s0, s18, s0
	v_mov_b32_e32 v7, v8
	s_addc_u32 s1, s19, s1
	s_waitcnt lgkmcnt(0)
	v_mov_b32_e32 v4, v3
	v_mov_b32_e32 v5, v2
	v_lshl_add_u64 v[6:7], v[6:7], 3, s[0:1]
	s_lshl_b64 s[0:1], s[14:15], 10
	s_mov_b64 s[2:3], 0
	s_mov_b64 s[4:5], 0x80
.LBB16_18:                              ; =>This Inner Loop Header: Depth=1
	flat_load_dwordx2 v[8:9], v[6:7]
	v_lshl_add_u64 v[0:1], v[0:1], 0, s[4:5]
	v_cmp_le_i64_e32 vcc, s[10:11], v[0:1]
	s_or_b64 s[2:3], vcc, s[2:3]
	s_waitcnt vmcnt(0) lgkmcnt(0)
	v_pk_mul_f32 v[10:11], v[4:5], v[8:9] op_sel:[0,1]
	s_nop 0
	v_pk_fma_f32 v[12:13], v[2:3], v[8:9], v[10:11] neg_lo:[0,0,1] neg_hi:[0,0,1]
	v_pk_fma_f32 v[8:9], v[2:3], v[8:9], v[10:11] op_sel_hi:[1,0,1]
	s_nop 0
	v_mov_b32_e32 v13, v9
	flat_store_dwordx2 v[6:7], v[12:13]
	v_lshl_add_u64 v[6:7], v[6:7], 0, s[0:1]
	s_andn2_b64 exec, exec, s[2:3]
	s_cbranch_execnz .LBB16_18
.LBB16_19:
	s_endpgm
.LBB16_20:
	s_andn2_saveexec_b64 s[28:29], s[4:5]
	s_cbranch_execz .LBB16_14
.LBB16_21:
	v_mov_b64_e32 v[6:7], s[22:23]
	flat_load_dword v6, v[6:7]
	s_mov_b32 s4, 0xf800000
	v_mov_b32_e32 v8, 0x260
	s_and_b64 s[0:1], exec, s[0:1]
	s_waitcnt vmcnt(0) lgkmcnt(0)
	v_fma_f32 v3, v6, v6, v4
	v_add_f32_e32 v3, v5, v3
	v_mul_f32_e32 v5, 0x4f800000, v3
	v_cmp_gt_f32_e32 vcc, s4, v3
	s_nop 1
	v_cndmask_b32_e32 v5, v3, v5, vcc
	v_sqrt_f32_e32 v7, v5
	v_mov_b32_e32 v3, 0
	v_add_u32_e32 v9, -1, v7
	v_add_u32_e32 v10, 1, v7
	v_fma_f32 v11, -v9, v7, v5
	v_fma_f32 v12, -v10, v7, v5
	v_cmp_ge_f32_e64 s[4:5], 0, v11
	s_nop 1
	v_cndmask_b32_e64 v7, v7, v9, s[4:5]
	v_cmp_lt_f32_e64 s[4:5], 0, v12
	s_nop 1
	v_cndmask_b32_e64 v7, v7, v10, s[4:5]
	v_mul_f32_e32 v9, 0x37800000, v7
	v_cndmask_b32_e32 v7, v7, v9, vcc
	v_cmp_class_f32_e32 vcc, v5, v8
	s_nop 1
	v_cndmask_b32_e32 v5, v7, v5, vcc
	v_cmp_le_f32_e32 vcc, 0, v6
	s_nop 1
	v_cndmask_b32_e64 v5, v5, -v5, vcc
	v_sub_f32_e32 v7, v6, v5
	v_sub_f32_e32 v8, v5, v6
	v_div_scale_f32 v6, s[4:5], v5, v5, -v2
	v_fmac_f32_e32 v4, v7, v7
	v_div_scale_f32 v10, s[6:7], v5, v5, v8
	v_rcp_f32_e32 v12, v6
	v_div_scale_f32 v13, s[8:9], v4, v4, v7
	v_div_scale_f32 v15, s[8:9], v4, v4, -v2
	v_rcp_f32_e32 v17, v10
	v_rcp_f32_e32 v18, v13
	;; [unrolled: 1-line block ×3, first 2 shown]
	v_fma_f32 v20, -v6, v12, 1.0
	v_div_scale_f32 v9, s[4:5], -v2, v5, -v2
	v_fma_f32 v21, -v10, v17, 1.0
	v_fmac_f32_e32 v12, v20, v12
	v_fma_f32 v20, -v13, v18, 1.0
	v_div_scale_f32 v14, vcc, v7, v4, v7
	v_fma_f32 v22, -v15, v19, 1.0
	v_fmac_f32_e32 v17, v21, v17
	v_mul_f32_e32 v21, v9, v12
	v_fmac_f32_e32 v18, v20, v18
	v_div_scale_f32 v11, s[6:7], v8, v5, v8
	v_div_scale_f32 v16, s[8:9], -v2, v4, -v2
	v_fmac_f32_e32 v19, v22, v19
	v_fma_f32 v22, -v6, v21, v9
	v_mul_f32_e32 v23, v14, v18
	v_mul_f32_e32 v20, v11, v17
	;; [unrolled: 1-line block ×3, first 2 shown]
	v_fmac_f32_e32 v21, v22, v12
	v_fma_f32 v22, -v13, v23, v14
	v_fma_f32 v25, -v10, v20, v11
	v_fma_f32 v26, -v15, v24, v16
	v_fmac_f32_e32 v23, v22, v18
	v_fmac_f32_e32 v20, v25, v17
	v_fma_f32 v9, -v6, v21, v9
	v_fmac_f32_e32 v24, v26, v19
	v_fma_f32 v6, -v13, v23, v14
	v_fma_f32 v10, -v10, v20, v11
	;; [unrolled: 1-line block ×3, first 2 shown]
	v_div_fmas_f32 v6, v6, v18, v23
	s_mov_b64 vcc, s[8:9]
	v_div_fixup_f32 v6, v6, v4, v7
	v_div_fmas_f32 v7, v11, v19, v24
	s_mov_b64 vcc, s[6:7]
	v_div_fixup_f32 v7, v7, v4, -v2
	v_div_fmas_f32 v4, v10, v17, v20
	s_mov_b64 vcc, s[4:5]
	ds_write_b64 v3, v[6:7]
	v_div_fixup_f32 v6, v4, v5, v8
	v_div_fmas_f32 v4, v9, v12, v21
	v_div_fixup_f32 v7, v4, v5, -v2
	s_mov_b64 vcc, s[0:1]
	global_store_dwordx2 v3, v[6:7], s[24:25]
	s_cbranch_vccz .LBB16_26
; %bb.22:
	global_store_dword v3, v5, s[20:21]
	v_mov_b32_e32 v4, 1.0
	v_mov_b64_e32 v[2:3], s[22:23]
	flat_store_dword v[2:3], v4
	s_cbranch_execnz .LBB16_24
.LBB16_23:
	v_mov_b64_e32 v[2:3], s[22:23]
	flat_store_dword v[2:3], v5
.LBB16_24:
	s_or_b64 s[26:27], s[26:27], exec
	s_or_b64 exec, exec, s[28:29]
	s_and_b64 exec, exec, s[26:27]
	s_cbranch_execnz .LBB16_15
	s_branch .LBB16_16
.LBB16_25:
	s_mov_b64 s[6:7], 0
	s_and_b64 s[26:27], s[6:7], exec
                                        ; implicit-def: $vgpr4
                                        ; implicit-def: $vgpr5
                                        ; implicit-def: $vgpr2
	s_andn2_saveexec_b64 s[28:29], s[4:5]
	s_cbranch_execz .LBB16_14
	s_branch .LBB16_21
.LBB16_26:
	s_branch .LBB16_23
	.section	.rodata,"a",@progbits
	.p2align	6, 0x0
	.amdhsa_kernel _ZN9rocsolver6v33100L18larfg_kernel_smallILi128E19rocblas_complex_numIfElfPKPS3_EEvT1_T3_llPT2_llS8_lS7_lPT0_l
		.amdhsa_group_segment_fixed_size 16
		.amdhsa_private_segment_fixed_size 0
		.amdhsa_kernarg_size 104
		.amdhsa_user_sgpr_count 2
		.amdhsa_user_sgpr_dispatch_ptr 0
		.amdhsa_user_sgpr_queue_ptr 0
		.amdhsa_user_sgpr_kernarg_segment_ptr 1
		.amdhsa_user_sgpr_dispatch_id 0
		.amdhsa_user_sgpr_kernarg_preload_length 0
		.amdhsa_user_sgpr_kernarg_preload_offset 0
		.amdhsa_user_sgpr_private_segment_size 0
		.amdhsa_uses_dynamic_stack 0
		.amdhsa_enable_private_segment 0
		.amdhsa_system_sgpr_workgroup_id_x 1
		.amdhsa_system_sgpr_workgroup_id_y 0
		.amdhsa_system_sgpr_workgroup_id_z 1
		.amdhsa_system_sgpr_workgroup_info 0
		.amdhsa_system_vgpr_workitem_id 0
		.amdhsa_next_free_vgpr 27
		.amdhsa_next_free_sgpr 30
		.amdhsa_accum_offset 28
		.amdhsa_reserve_vcc 1
		.amdhsa_float_round_mode_32 0
		.amdhsa_float_round_mode_16_64 0
		.amdhsa_float_denorm_mode_32 3
		.amdhsa_float_denorm_mode_16_64 3
		.amdhsa_dx10_clamp 1
		.amdhsa_ieee_mode 1
		.amdhsa_fp16_overflow 0
		.amdhsa_tg_split 0
		.amdhsa_exception_fp_ieee_invalid_op 0
		.amdhsa_exception_fp_denorm_src 0
		.amdhsa_exception_fp_ieee_div_zero 0
		.amdhsa_exception_fp_ieee_overflow 0
		.amdhsa_exception_fp_ieee_underflow 0
		.amdhsa_exception_fp_ieee_inexact 0
		.amdhsa_exception_int_div_zero 0
	.end_amdhsa_kernel
	.section	.text._ZN9rocsolver6v33100L18larfg_kernel_smallILi128E19rocblas_complex_numIfElfPKPS3_EEvT1_T3_llPT2_llS8_lS7_lPT0_l,"axG",@progbits,_ZN9rocsolver6v33100L18larfg_kernel_smallILi128E19rocblas_complex_numIfElfPKPS3_EEvT1_T3_llPT2_llS8_lS7_lPT0_l,comdat
.Lfunc_end16:
	.size	_ZN9rocsolver6v33100L18larfg_kernel_smallILi128E19rocblas_complex_numIfElfPKPS3_EEvT1_T3_llPT2_llS8_lS7_lPT0_l, .Lfunc_end16-_ZN9rocsolver6v33100L18larfg_kernel_smallILi128E19rocblas_complex_numIfElfPKPS3_EEvT1_T3_llPT2_llS8_lS7_lPT0_l
                                        ; -- End function
	.set _ZN9rocsolver6v33100L18larfg_kernel_smallILi128E19rocblas_complex_numIfElfPKPS3_EEvT1_T3_llPT2_llS8_lS7_lPT0_l.num_vgpr, 27
	.set _ZN9rocsolver6v33100L18larfg_kernel_smallILi128E19rocblas_complex_numIfElfPKPS3_EEvT1_T3_llPT2_llS8_lS7_lPT0_l.num_agpr, 0
	.set _ZN9rocsolver6v33100L18larfg_kernel_smallILi128E19rocblas_complex_numIfElfPKPS3_EEvT1_T3_llPT2_llS8_lS7_lPT0_l.numbered_sgpr, 30
	.set _ZN9rocsolver6v33100L18larfg_kernel_smallILi128E19rocblas_complex_numIfElfPKPS3_EEvT1_T3_llPT2_llS8_lS7_lPT0_l.num_named_barrier, 0
	.set _ZN9rocsolver6v33100L18larfg_kernel_smallILi128E19rocblas_complex_numIfElfPKPS3_EEvT1_T3_llPT2_llS8_lS7_lPT0_l.private_seg_size, 0
	.set _ZN9rocsolver6v33100L18larfg_kernel_smallILi128E19rocblas_complex_numIfElfPKPS3_EEvT1_T3_llPT2_llS8_lS7_lPT0_l.uses_vcc, 1
	.set _ZN9rocsolver6v33100L18larfg_kernel_smallILi128E19rocblas_complex_numIfElfPKPS3_EEvT1_T3_llPT2_llS8_lS7_lPT0_l.uses_flat_scratch, 0
	.set _ZN9rocsolver6v33100L18larfg_kernel_smallILi128E19rocblas_complex_numIfElfPKPS3_EEvT1_T3_llPT2_llS8_lS7_lPT0_l.has_dyn_sized_stack, 0
	.set _ZN9rocsolver6v33100L18larfg_kernel_smallILi128E19rocblas_complex_numIfElfPKPS3_EEvT1_T3_llPT2_llS8_lS7_lPT0_l.has_recursion, 0
	.set _ZN9rocsolver6v33100L18larfg_kernel_smallILi128E19rocblas_complex_numIfElfPKPS3_EEvT1_T3_llPT2_llS8_lS7_lPT0_l.has_indirect_call, 0
	.section	.AMDGPU.csdata,"",@progbits
; Kernel info:
; codeLenInByte = 1772
; TotalNumSgprs: 36
; NumVgprs: 27
; NumAgprs: 0
; TotalNumVgprs: 27
; ScratchSize: 0
; MemoryBound: 0
; FloatMode: 240
; IeeeMode: 1
; LDSByteSize: 16 bytes/workgroup (compile time only)
; SGPRBlocks: 4
; VGPRBlocks: 3
; NumSGPRsForWavesPerEU: 36
; NumVGPRsForWavesPerEU: 27
; AccumOffset: 28
; Occupancy: 8
; WaveLimiterHint : 1
; COMPUTE_PGM_RSRC2:SCRATCH_EN: 0
; COMPUTE_PGM_RSRC2:USER_SGPR: 2
; COMPUTE_PGM_RSRC2:TRAP_HANDLER: 0
; COMPUTE_PGM_RSRC2:TGID_X_EN: 1
; COMPUTE_PGM_RSRC2:TGID_Y_EN: 0
; COMPUTE_PGM_RSRC2:TGID_Z_EN: 1
; COMPUTE_PGM_RSRC2:TIDIG_COMP_CNT: 0
; COMPUTE_PGM_RSRC3_GFX90A:ACCUM_OFFSET: 6
; COMPUTE_PGM_RSRC3_GFX90A:TG_SPLIT: 0
	.section	.text._ZN9rocsolver6v33100L18larfg_kernel_smallILi256E19rocblas_complex_numIfElfPKPS3_EEvT1_T3_llPT2_llS8_lS7_lPT0_l,"axG",@progbits,_ZN9rocsolver6v33100L18larfg_kernel_smallILi256E19rocblas_complex_numIfElfPKPS3_EEvT1_T3_llPT2_llS8_lS7_lPT0_l,comdat
	.globl	_ZN9rocsolver6v33100L18larfg_kernel_smallILi256E19rocblas_complex_numIfElfPKPS3_EEvT1_T3_llPT2_llS8_lS7_lPT0_l ; -- Begin function _ZN9rocsolver6v33100L18larfg_kernel_smallILi256E19rocblas_complex_numIfElfPKPS3_EEvT1_T3_llPT2_llS8_lS7_lPT0_l
	.p2align	8
	.type	_ZN9rocsolver6v33100L18larfg_kernel_smallILi256E19rocblas_complex_numIfElfPKPS3_EEvT1_T3_llPT2_llS8_lS7_lPT0_l,@function
_ZN9rocsolver6v33100L18larfg_kernel_smallILi256E19rocblas_complex_numIfElfPKPS3_EEvT1_T3_llPT2_llS8_lS7_lPT0_l: ; @_ZN9rocsolver6v33100L18larfg_kernel_smallILi256E19rocblas_complex_numIfElfPKPS3_EEvT1_T3_llPT2_llS8_lS7_lPT0_l
; %bb.0:
	s_mov_b32 s24, s3
	s_load_dwordx4 s[16:19], s[0:1], 0x0
	s_load_dwordx2 s[22:23], s[0:1], 0x10
	s_load_dwordx8 s[4:11], s[0:1], 0x20
	s_load_dwordx4 s[12:15], s[0:1], 0x40
	s_mov_b32 s25, 0
	s_lshl_b64 s[20:21], s[24:25], 3
	s_waitcnt lgkmcnt(0)
	s_add_u32 s2, s18, s20
	s_addc_u32 s3, s19, s21
	s_add_u32 s10, s10, s20
	s_addc_u32 s11, s11, s21
	s_load_dwordx2 s[18:19], s[10:11], 0x0
	s_cmp_eq_u64 s[4:5], 0
	s_mov_b64 s[20:21], 0
	s_cbranch_scc1 .LBB17_2
; %bb.1:
	s_mul_i32 s9, s9, s24
	s_mul_hi_u32 s10, s8, s24
	s_add_i32 s9, s10, s9
	s_mul_i32 s8, s8, s24
	s_lshl_b64 s[8:9], s[8:9], 2
	s_add_u32 s8, s4, s8
	s_addc_u32 s9, s5, s9
	s_lshl_b64 s[4:5], s[6:7], 2
	s_add_u32 s20, s8, s4
	s_addc_u32 s21, s9, s5
.LBB17_2:
	s_load_dwordx2 s[4:5], s[2:3], 0x0
	s_add_u32 s10, s16, -1
	v_mov_b32_e32 v1, 0
	s_addc_u32 s11, s17, -1
	v_cmp_gt_i64_e64 s[2:3], s[10:11], v[0:1]
	v_mov_b32_e32 v3, v1
	v_mov_b32_e32 v2, v1
	s_and_saveexec_b64 s[6:7], s[2:3]
	s_cbranch_execz .LBB17_6
; %bb.3:
	v_mad_u64_u32 v[2:3], s[8:9], s14, v0, 0
	v_mov_b32_e32 v4, v3
	v_mad_u64_u32 v[4:5], s[8:9], s15, v0, v[4:5]
	s_lshl_b64 s[8:9], s[12:13], 3
	s_waitcnt lgkmcnt(0)
	s_add_u32 s8, s18, s8
	v_mov_b32_e32 v3, v4
	s_addc_u32 s9, s19, s9
	v_lshl_add_u64 v[4:5], v[2:3], 3, s[8:9]
	v_mov_b32_e32 v3, 0
	s_lshl_b64 s[8:9], s[14:15], 11
	s_mov_b64 s[16:17], 0
	s_mov_b64 s[26:27], 0x100
	v_mov_b64_e32 v[6:7], v[0:1]
	v_mov_b32_e32 v2, v3
.LBB17_4:                               ; =>This Inner Loop Header: Depth=1
	flat_load_dwordx2 v[8:9], v[4:5]
	v_lshl_add_u64 v[6:7], v[6:7], 0, s[26:27]
	v_cmp_le_i64_e32 vcc, s[10:11], v[6:7]
	v_lshl_add_u64 v[4:5], v[4:5], 0, s[8:9]
	s_or_b64 s[16:17], vcc, s[16:17]
	s_waitcnt vmcnt(0) lgkmcnt(0)
	v_pk_mul_f32 v[10:11], v[8:9], v[8:9] op_sel:[1,1] op_sel_hi:[0,1]
	v_pk_fma_f32 v[12:13], v[8:9], v[8:9], v[10:11]
	v_pk_fma_f32 v[8:9], v[8:9], v[8:9], v[10:11] op_sel_hi:[0,1,1] neg_lo:[0,0,1] neg_hi:[0,0,1]
	v_mov_b32_e32 v13, v9
	v_pk_add_f32 v[2:3], v[2:3], v[12:13]
	s_andn2_b64 exec, exec, s[16:17]
	s_cbranch_execnz .LBB17_4
; %bb.5:
	s_or_b64 exec, exec, s[16:17]
.LBB17_6:
	s_or_b64 exec, exec, s[6:7]
	v_mbcnt_lo_u32_b32 v4, -1, 0
	v_mbcnt_hi_u32_b32 v6, -1, v4
	v_and_b32_e32 v7, 63, v6
	v_cmp_ne_u32_e32 vcc, 63, v7
	s_nop 1
	v_addc_co_u32_e32 v4, vcc, 0, v6, vcc
	v_lshlrev_b32_e32 v5, 2, v4
	ds_bpermute_b32 v4, v5, v2
	ds_bpermute_b32 v5, v5, v3
	v_cmp_gt_u32_e32 vcc, 62, v7
	s_waitcnt lgkmcnt(0)
	v_pk_add_f32 v[2:3], v[2:3], v[4:5]
	v_cndmask_b32_e64 v8, 0, 2, vcc
	v_add_lshl_u32 v8, v8, v6, 2
	ds_bpermute_b32 v4, v8, v2
	ds_bpermute_b32 v5, v8, v3
	v_cmp_gt_u32_e32 vcc, 60, v7
	s_waitcnt lgkmcnt(0)
	v_pk_add_f32 v[2:3], v[2:3], v[4:5]
	v_cndmask_b32_e64 v8, 0, 4, vcc
	v_add_lshl_u32 v8, v8, v6, 2
	;; [unrolled: 7-line block ×4, first 2 shown]
	ds_bpermute_b32 v4, v7, v2
	ds_bpermute_b32 v5, v7, v3
	v_mov_b32_e32 v7, 0x80
	v_lshl_or_b32 v6, v6, 2, v7
	s_waitcnt lgkmcnt(0)
	v_pk_add_f32 v[2:3], v[2:3], v[4:5]
	ds_bpermute_b32 v4, v6, v2
	ds_bpermute_b32 v5, v6, v3
	v_and_b32_e32 v6, 63, v0
	v_cmp_eq_u32_e32 vcc, 0, v6
	s_waitcnt lgkmcnt(0)
	v_pk_add_f32 v[2:3], v[2:3], v[4:5]
	s_and_saveexec_b64 s[6:7], vcc
; %bb.7:
	v_lshrrev_b32_e32 v4, 3, v0
	ds_write_b64 v4, v[2:3]
; %bb.8:
	s_or_b64 exec, exec, s[6:7]
	v_cmp_eq_u32_e32 vcc, 0, v0
	s_waitcnt lgkmcnt(0)
	s_barrier
	s_and_saveexec_b64 s[6:7], vcc
	s_cbranch_execz .LBB17_10
; %bb.9:
	v_mov_b32_e32 v10, 0
	ds_read2_b64 v[4:7], v10 offset0:1 offset1:2
	ds_read_b64 v[8:9], v10 offset:24
	s_waitcnt lgkmcnt(1)
	v_pk_add_f32 v[2:3], v[2:3], v[4:5]
	s_nop 0
	v_pk_add_f32 v[2:3], v[2:3], v[6:7]
	s_waitcnt lgkmcnt(0)
	v_pk_add_f32 v[2:3], v[2:3], v[8:9]
	ds_write_b64 v10, v[2:3]
.LBB17_10:
	s_or_b64 exec, exec, s[6:7]
	s_waitcnt lgkmcnt(0)
	s_barrier
	s_and_saveexec_b64 s[16:17], vcc
	s_cbranch_execz .LBB17_16
; %bb.11:
	s_lshl_b64 s[6:7], s[22:23], 3
	s_add_u32 s22, s4, s6
	s_addc_u32 s23, s5, s7
	v_mov_b64_e32 v[2:3], s[22:23]
	flat_load_dword v2, v[2:3] offset:4
	s_load_dwordx4 s[4:7], s[0:1], 0x58
	v_mov_b32_e32 v3, 0
	ds_read_b32 v5, v3
	s_mov_b64 s[26:27], 0
	s_waitcnt lgkmcnt(0)
	s_mul_i32 s1, s7, s24
	s_mul_hi_u32 s7, s6, s24
	s_mul_i32 s0, s6, s24
	s_add_i32 s1, s7, s1
	s_lshl_b64 s[0:1], s[0:1], 3
	s_add_u32 s24, s4, s0
	s_addc_u32 s25, s5, s1
	v_max_f32_e32 v6, v5, v5
	s_cmp_lg_u64 s[20:21], 0
	s_cselect_b64 s[0:1], -1, 0
	s_waitcnt vmcnt(0)
	v_mul_f32_e32 v4, v2, v2
	v_max_f32_e32 v6, v6, v4
	v_cmp_nlt_f32_e32 vcc, 0, v6
	s_and_saveexec_b64 s[4:5], vcc
	s_xor_b64 s[4:5], exec, s[4:5]
	s_cbranch_execz .LBB17_20
; %bb.12:
	v_mov_b32_e32 v2, 1.0
	v_mov_b32_e32 v4, v3
	v_mov_b32_e32 v5, v3
	s_and_b64 vcc, exec, s[0:1]
	ds_write_b64 v3, v[2:3]
	global_store_dwordx2 v3, v[4:5], s[24:25]
	s_cbranch_vccz .LBB17_25
; %bb.13:
	v_mov_b64_e32 v[4:5], s[22:23]
	flat_load_dword v3, v[4:5]
	v_mov_b32_e32 v6, 0
	s_mov_b64 s[6:7], -1
	s_waitcnt vmcnt(0) lgkmcnt(0)
	global_store_dword v6, v3, s[20:21]
	flat_store_dword v[4:5], v2
	s_and_b64 s[26:27], s[6:7], exec
                                        ; implicit-def: $vgpr4
                                        ; implicit-def: $vgpr5
                                        ; implicit-def: $vgpr2
	s_andn2_saveexec_b64 s[28:29], s[4:5]
	s_cbranch_execnz .LBB17_21
.LBB17_14:
	s_or_b64 exec, exec, s[28:29]
	s_and_b64 exec, exec, s[26:27]
	s_cbranch_execz .LBB17_16
.LBB17_15:
	v_mov_b32_e32 v4, 0
	v_mov_b64_e32 v[2:3], s[22:23]
	flat_store_dword v[2:3], v4 offset:4
.LBB17_16:
	s_or_b64 exec, exec, s[16:17]
	s_waitcnt lgkmcnt(0)
	s_barrier
	s_and_saveexec_b64 s[0:1], s[2:3]
	s_cbranch_execz .LBB17_19
; %bb.17:
	v_mov_b32_e32 v2, 0
	v_mad_u64_u32 v[6:7], s[0:1], s14, v0, 0
	ds_read_b64 v[2:3], v2
	v_mov_b32_e32 v8, v7
	v_mad_u64_u32 v[8:9], s[0:1], s15, v0, v[8:9]
	s_lshl_b64 s[0:1], s[12:13], 3
	s_add_u32 s0, s18, s0
	v_mov_b32_e32 v7, v8
	s_addc_u32 s1, s19, s1
	s_waitcnt lgkmcnt(0)
	v_mov_b32_e32 v4, v3
	v_mov_b32_e32 v5, v2
	v_lshl_add_u64 v[6:7], v[6:7], 3, s[0:1]
	s_lshl_b64 s[0:1], s[14:15], 11
	s_mov_b64 s[2:3], 0
	s_mov_b64 s[4:5], 0x100
.LBB17_18:                              ; =>This Inner Loop Header: Depth=1
	flat_load_dwordx2 v[8:9], v[6:7]
	v_lshl_add_u64 v[0:1], v[0:1], 0, s[4:5]
	v_cmp_le_i64_e32 vcc, s[10:11], v[0:1]
	s_or_b64 s[2:3], vcc, s[2:3]
	s_waitcnt vmcnt(0) lgkmcnt(0)
	v_pk_mul_f32 v[10:11], v[4:5], v[8:9] op_sel:[0,1]
	s_nop 0
	v_pk_fma_f32 v[12:13], v[2:3], v[8:9], v[10:11] neg_lo:[0,0,1] neg_hi:[0,0,1]
	v_pk_fma_f32 v[8:9], v[2:3], v[8:9], v[10:11] op_sel_hi:[1,0,1]
	s_nop 0
	v_mov_b32_e32 v13, v9
	flat_store_dwordx2 v[6:7], v[12:13]
	v_lshl_add_u64 v[6:7], v[6:7], 0, s[0:1]
	s_andn2_b64 exec, exec, s[2:3]
	s_cbranch_execnz .LBB17_18
.LBB17_19:
	s_endpgm
.LBB17_20:
	s_andn2_saveexec_b64 s[28:29], s[4:5]
	s_cbranch_execz .LBB17_14
.LBB17_21:
	v_mov_b64_e32 v[6:7], s[22:23]
	flat_load_dword v6, v[6:7]
	s_mov_b32 s4, 0xf800000
	v_mov_b32_e32 v8, 0x260
	s_and_b64 s[0:1], exec, s[0:1]
	s_waitcnt vmcnt(0) lgkmcnt(0)
	v_fma_f32 v3, v6, v6, v4
	v_add_f32_e32 v3, v5, v3
	v_mul_f32_e32 v5, 0x4f800000, v3
	v_cmp_gt_f32_e32 vcc, s4, v3
	s_nop 1
	v_cndmask_b32_e32 v5, v3, v5, vcc
	v_sqrt_f32_e32 v7, v5
	v_mov_b32_e32 v3, 0
	v_add_u32_e32 v9, -1, v7
	v_add_u32_e32 v10, 1, v7
	v_fma_f32 v11, -v9, v7, v5
	v_fma_f32 v12, -v10, v7, v5
	v_cmp_ge_f32_e64 s[4:5], 0, v11
	s_nop 1
	v_cndmask_b32_e64 v7, v7, v9, s[4:5]
	v_cmp_lt_f32_e64 s[4:5], 0, v12
	s_nop 1
	v_cndmask_b32_e64 v7, v7, v10, s[4:5]
	v_mul_f32_e32 v9, 0x37800000, v7
	v_cndmask_b32_e32 v7, v7, v9, vcc
	v_cmp_class_f32_e32 vcc, v5, v8
	s_nop 1
	v_cndmask_b32_e32 v5, v7, v5, vcc
	v_cmp_le_f32_e32 vcc, 0, v6
	s_nop 1
	v_cndmask_b32_e64 v5, v5, -v5, vcc
	v_sub_f32_e32 v7, v6, v5
	v_sub_f32_e32 v8, v5, v6
	v_div_scale_f32 v6, s[4:5], v5, v5, -v2
	v_fmac_f32_e32 v4, v7, v7
	v_div_scale_f32 v10, s[6:7], v5, v5, v8
	v_rcp_f32_e32 v12, v6
	v_div_scale_f32 v13, s[8:9], v4, v4, v7
	v_div_scale_f32 v15, s[8:9], v4, v4, -v2
	v_rcp_f32_e32 v17, v10
	v_rcp_f32_e32 v18, v13
	;; [unrolled: 1-line block ×3, first 2 shown]
	v_fma_f32 v20, -v6, v12, 1.0
	v_div_scale_f32 v9, s[4:5], -v2, v5, -v2
	v_fma_f32 v21, -v10, v17, 1.0
	v_fmac_f32_e32 v12, v20, v12
	v_fma_f32 v20, -v13, v18, 1.0
	v_div_scale_f32 v14, vcc, v7, v4, v7
	v_fma_f32 v22, -v15, v19, 1.0
	v_fmac_f32_e32 v17, v21, v17
	v_mul_f32_e32 v21, v9, v12
	v_fmac_f32_e32 v18, v20, v18
	v_div_scale_f32 v11, s[6:7], v8, v5, v8
	v_div_scale_f32 v16, s[8:9], -v2, v4, -v2
	v_fmac_f32_e32 v19, v22, v19
	v_fma_f32 v22, -v6, v21, v9
	v_mul_f32_e32 v23, v14, v18
	v_mul_f32_e32 v20, v11, v17
	;; [unrolled: 1-line block ×3, first 2 shown]
	v_fmac_f32_e32 v21, v22, v12
	v_fma_f32 v22, -v13, v23, v14
	v_fma_f32 v25, -v10, v20, v11
	v_fma_f32 v26, -v15, v24, v16
	v_fmac_f32_e32 v23, v22, v18
	v_fmac_f32_e32 v20, v25, v17
	v_fma_f32 v9, -v6, v21, v9
	v_fmac_f32_e32 v24, v26, v19
	v_fma_f32 v6, -v13, v23, v14
	v_fma_f32 v10, -v10, v20, v11
	;; [unrolled: 1-line block ×3, first 2 shown]
	v_div_fmas_f32 v6, v6, v18, v23
	s_mov_b64 vcc, s[8:9]
	v_div_fixup_f32 v6, v6, v4, v7
	v_div_fmas_f32 v7, v11, v19, v24
	s_mov_b64 vcc, s[6:7]
	v_div_fixup_f32 v7, v7, v4, -v2
	v_div_fmas_f32 v4, v10, v17, v20
	s_mov_b64 vcc, s[4:5]
	ds_write_b64 v3, v[6:7]
	v_div_fixup_f32 v6, v4, v5, v8
	v_div_fmas_f32 v4, v9, v12, v21
	v_div_fixup_f32 v7, v4, v5, -v2
	s_mov_b64 vcc, s[0:1]
	global_store_dwordx2 v3, v[6:7], s[24:25]
	s_cbranch_vccz .LBB17_26
; %bb.22:
	global_store_dword v3, v5, s[20:21]
	v_mov_b32_e32 v4, 1.0
	v_mov_b64_e32 v[2:3], s[22:23]
	flat_store_dword v[2:3], v4
	s_cbranch_execnz .LBB17_24
.LBB17_23:
	v_mov_b64_e32 v[2:3], s[22:23]
	flat_store_dword v[2:3], v5
.LBB17_24:
	s_or_b64 s[26:27], s[26:27], exec
	s_or_b64 exec, exec, s[28:29]
	s_and_b64 exec, exec, s[26:27]
	s_cbranch_execnz .LBB17_15
	s_branch .LBB17_16
.LBB17_25:
	s_mov_b64 s[6:7], 0
	s_and_b64 s[26:27], s[6:7], exec
                                        ; implicit-def: $vgpr4
                                        ; implicit-def: $vgpr5
                                        ; implicit-def: $vgpr2
	s_andn2_saveexec_b64 s[28:29], s[4:5]
	s_cbranch_execz .LBB17_14
	s_branch .LBB17_21
.LBB17_26:
	s_branch .LBB17_23
	.section	.rodata,"a",@progbits
	.p2align	6, 0x0
	.amdhsa_kernel _ZN9rocsolver6v33100L18larfg_kernel_smallILi256E19rocblas_complex_numIfElfPKPS3_EEvT1_T3_llPT2_llS8_lS7_lPT0_l
		.amdhsa_group_segment_fixed_size 32
		.amdhsa_private_segment_fixed_size 0
		.amdhsa_kernarg_size 104
		.amdhsa_user_sgpr_count 2
		.amdhsa_user_sgpr_dispatch_ptr 0
		.amdhsa_user_sgpr_queue_ptr 0
		.amdhsa_user_sgpr_kernarg_segment_ptr 1
		.amdhsa_user_sgpr_dispatch_id 0
		.amdhsa_user_sgpr_kernarg_preload_length 0
		.amdhsa_user_sgpr_kernarg_preload_offset 0
		.amdhsa_user_sgpr_private_segment_size 0
		.amdhsa_uses_dynamic_stack 0
		.amdhsa_enable_private_segment 0
		.amdhsa_system_sgpr_workgroup_id_x 1
		.amdhsa_system_sgpr_workgroup_id_y 0
		.amdhsa_system_sgpr_workgroup_id_z 1
		.amdhsa_system_sgpr_workgroup_info 0
		.amdhsa_system_vgpr_workitem_id 0
		.amdhsa_next_free_vgpr 27
		.amdhsa_next_free_sgpr 30
		.amdhsa_accum_offset 28
		.amdhsa_reserve_vcc 1
		.amdhsa_float_round_mode_32 0
		.amdhsa_float_round_mode_16_64 0
		.amdhsa_float_denorm_mode_32 3
		.amdhsa_float_denorm_mode_16_64 3
		.amdhsa_dx10_clamp 1
		.amdhsa_ieee_mode 1
		.amdhsa_fp16_overflow 0
		.amdhsa_tg_split 0
		.amdhsa_exception_fp_ieee_invalid_op 0
		.amdhsa_exception_fp_denorm_src 0
		.amdhsa_exception_fp_ieee_div_zero 0
		.amdhsa_exception_fp_ieee_overflow 0
		.amdhsa_exception_fp_ieee_underflow 0
		.amdhsa_exception_fp_ieee_inexact 0
		.amdhsa_exception_int_div_zero 0
	.end_amdhsa_kernel
	.section	.text._ZN9rocsolver6v33100L18larfg_kernel_smallILi256E19rocblas_complex_numIfElfPKPS3_EEvT1_T3_llPT2_llS8_lS7_lPT0_l,"axG",@progbits,_ZN9rocsolver6v33100L18larfg_kernel_smallILi256E19rocblas_complex_numIfElfPKPS3_EEvT1_T3_llPT2_llS8_lS7_lPT0_l,comdat
.Lfunc_end17:
	.size	_ZN9rocsolver6v33100L18larfg_kernel_smallILi256E19rocblas_complex_numIfElfPKPS3_EEvT1_T3_llPT2_llS8_lS7_lPT0_l, .Lfunc_end17-_ZN9rocsolver6v33100L18larfg_kernel_smallILi256E19rocblas_complex_numIfElfPKPS3_EEvT1_T3_llPT2_llS8_lS7_lPT0_l
                                        ; -- End function
	.set _ZN9rocsolver6v33100L18larfg_kernel_smallILi256E19rocblas_complex_numIfElfPKPS3_EEvT1_T3_llPT2_llS8_lS7_lPT0_l.num_vgpr, 27
	.set _ZN9rocsolver6v33100L18larfg_kernel_smallILi256E19rocblas_complex_numIfElfPKPS3_EEvT1_T3_llPT2_llS8_lS7_lPT0_l.num_agpr, 0
	.set _ZN9rocsolver6v33100L18larfg_kernel_smallILi256E19rocblas_complex_numIfElfPKPS3_EEvT1_T3_llPT2_llS8_lS7_lPT0_l.numbered_sgpr, 30
	.set _ZN9rocsolver6v33100L18larfg_kernel_smallILi256E19rocblas_complex_numIfElfPKPS3_EEvT1_T3_llPT2_llS8_lS7_lPT0_l.num_named_barrier, 0
	.set _ZN9rocsolver6v33100L18larfg_kernel_smallILi256E19rocblas_complex_numIfElfPKPS3_EEvT1_T3_llPT2_llS8_lS7_lPT0_l.private_seg_size, 0
	.set _ZN9rocsolver6v33100L18larfg_kernel_smallILi256E19rocblas_complex_numIfElfPKPS3_EEvT1_T3_llPT2_llS8_lS7_lPT0_l.uses_vcc, 1
	.set _ZN9rocsolver6v33100L18larfg_kernel_smallILi256E19rocblas_complex_numIfElfPKPS3_EEvT1_T3_llPT2_llS8_lS7_lPT0_l.uses_flat_scratch, 0
	.set _ZN9rocsolver6v33100L18larfg_kernel_smallILi256E19rocblas_complex_numIfElfPKPS3_EEvT1_T3_llPT2_llS8_lS7_lPT0_l.has_dyn_sized_stack, 0
	.set _ZN9rocsolver6v33100L18larfg_kernel_smallILi256E19rocblas_complex_numIfElfPKPS3_EEvT1_T3_llPT2_llS8_lS7_lPT0_l.has_recursion, 0
	.set _ZN9rocsolver6v33100L18larfg_kernel_smallILi256E19rocblas_complex_numIfElfPKPS3_EEvT1_T3_llPT2_llS8_lS7_lPT0_l.has_indirect_call, 0
	.section	.AMDGPU.csdata,"",@progbits
; Kernel info:
; codeLenInByte = 1804
; TotalNumSgprs: 36
; NumVgprs: 27
; NumAgprs: 0
; TotalNumVgprs: 27
; ScratchSize: 0
; MemoryBound: 0
; FloatMode: 240
; IeeeMode: 1
; LDSByteSize: 32 bytes/workgroup (compile time only)
; SGPRBlocks: 4
; VGPRBlocks: 3
; NumSGPRsForWavesPerEU: 36
; NumVGPRsForWavesPerEU: 27
; AccumOffset: 28
; Occupancy: 8
; WaveLimiterHint : 1
; COMPUTE_PGM_RSRC2:SCRATCH_EN: 0
; COMPUTE_PGM_RSRC2:USER_SGPR: 2
; COMPUTE_PGM_RSRC2:TRAP_HANDLER: 0
; COMPUTE_PGM_RSRC2:TGID_X_EN: 1
; COMPUTE_PGM_RSRC2:TGID_Y_EN: 0
; COMPUTE_PGM_RSRC2:TGID_Z_EN: 1
; COMPUTE_PGM_RSRC2:TIDIG_COMP_CNT: 0
; COMPUTE_PGM_RSRC3_GFX90A:ACCUM_OFFSET: 6
; COMPUTE_PGM_RSRC3_GFX90A:TG_SPLIT: 0
	.section	.text._ZN9rocsolver6v33100L18larfg_kernel_smallILi512E19rocblas_complex_numIfElfPKPS3_EEvT1_T3_llPT2_llS8_lS7_lPT0_l,"axG",@progbits,_ZN9rocsolver6v33100L18larfg_kernel_smallILi512E19rocblas_complex_numIfElfPKPS3_EEvT1_T3_llPT2_llS8_lS7_lPT0_l,comdat
	.globl	_ZN9rocsolver6v33100L18larfg_kernel_smallILi512E19rocblas_complex_numIfElfPKPS3_EEvT1_T3_llPT2_llS8_lS7_lPT0_l ; -- Begin function _ZN9rocsolver6v33100L18larfg_kernel_smallILi512E19rocblas_complex_numIfElfPKPS3_EEvT1_T3_llPT2_llS8_lS7_lPT0_l
	.p2align	8
	.type	_ZN9rocsolver6v33100L18larfg_kernel_smallILi512E19rocblas_complex_numIfElfPKPS3_EEvT1_T3_llPT2_llS8_lS7_lPT0_l,@function
_ZN9rocsolver6v33100L18larfg_kernel_smallILi512E19rocblas_complex_numIfElfPKPS3_EEvT1_T3_llPT2_llS8_lS7_lPT0_l: ; @_ZN9rocsolver6v33100L18larfg_kernel_smallILi512E19rocblas_complex_numIfElfPKPS3_EEvT1_T3_llPT2_llS8_lS7_lPT0_l
; %bb.0:
	s_mov_b32 s24, s3
	s_load_dwordx4 s[16:19], s[0:1], 0x0
	s_load_dwordx2 s[22:23], s[0:1], 0x10
	s_load_dwordx8 s[4:11], s[0:1], 0x20
	s_load_dwordx4 s[12:15], s[0:1], 0x40
	s_mov_b32 s25, 0
	s_lshl_b64 s[20:21], s[24:25], 3
	s_waitcnt lgkmcnt(0)
	s_add_u32 s2, s18, s20
	s_addc_u32 s3, s19, s21
	s_add_u32 s10, s10, s20
	s_addc_u32 s11, s11, s21
	s_load_dwordx2 s[18:19], s[10:11], 0x0
	s_cmp_eq_u64 s[4:5], 0
	s_mov_b64 s[20:21], 0
	s_cbranch_scc1 .LBB18_2
; %bb.1:
	s_mul_i32 s9, s9, s24
	s_mul_hi_u32 s10, s8, s24
	s_add_i32 s9, s10, s9
	s_mul_i32 s8, s8, s24
	s_lshl_b64 s[8:9], s[8:9], 2
	s_add_u32 s8, s4, s8
	s_addc_u32 s9, s5, s9
	s_lshl_b64 s[4:5], s[6:7], 2
	s_add_u32 s20, s8, s4
	s_addc_u32 s21, s9, s5
.LBB18_2:
	s_load_dwordx2 s[4:5], s[2:3], 0x0
	s_add_u32 s10, s16, -1
	v_mov_b32_e32 v1, 0
	s_addc_u32 s11, s17, -1
	v_cmp_gt_i64_e64 s[2:3], s[10:11], v[0:1]
	v_mov_b32_e32 v3, v1
	v_mov_b32_e32 v2, v1
	s_and_saveexec_b64 s[6:7], s[2:3]
	s_cbranch_execz .LBB18_6
; %bb.3:
	v_mad_u64_u32 v[2:3], s[8:9], s14, v0, 0
	v_mov_b32_e32 v4, v3
	v_mad_u64_u32 v[4:5], s[8:9], s15, v0, v[4:5]
	s_lshl_b64 s[8:9], s[12:13], 3
	s_waitcnt lgkmcnt(0)
	s_add_u32 s8, s18, s8
	v_mov_b32_e32 v3, v4
	s_addc_u32 s9, s19, s9
	v_lshl_add_u64 v[4:5], v[2:3], 3, s[8:9]
	v_mov_b32_e32 v2, 0
	s_lshl_b64 s[8:9], s[14:15], 12
	s_mov_b64 s[16:17], 0
	s_mov_b64 s[26:27], 0x200
	v_mov_b64_e32 v[6:7], v[0:1]
	v_mov_b32_e32 v3, v2
.LBB18_4:                               ; =>This Inner Loop Header: Depth=1
	flat_load_dwordx2 v[8:9], v[4:5]
	v_lshl_add_u64 v[6:7], v[6:7], 0, s[26:27]
	v_cmp_le_i64_e32 vcc, s[10:11], v[6:7]
	v_lshl_add_u64 v[4:5], v[4:5], 0, s[8:9]
	s_or_b64 s[16:17], vcc, s[16:17]
	s_waitcnt vmcnt(0) lgkmcnt(0)
	v_pk_mul_f32 v[10:11], v[8:9], v[8:9] op_sel:[1,1] op_sel_hi:[0,1]
	v_pk_fma_f32 v[12:13], v[8:9], v[8:9], v[10:11]
	v_pk_fma_f32 v[8:9], v[8:9], v[8:9], v[10:11] op_sel_hi:[0,1,1] neg_lo:[0,0,1] neg_hi:[0,0,1]
	v_mov_b32_e32 v13, v9
	v_pk_add_f32 v[2:3], v[2:3], v[12:13]
	s_andn2_b64 exec, exec, s[16:17]
	s_cbranch_execnz .LBB18_4
; %bb.5:
	s_or_b64 exec, exec, s[16:17]
.LBB18_6:
	s_or_b64 exec, exec, s[6:7]
	v_mbcnt_lo_u32_b32 v4, -1, 0
	v_mbcnt_hi_u32_b32 v6, -1, v4
	v_and_b32_e32 v7, 63, v6
	v_cmp_ne_u32_e32 vcc, 63, v7
	s_nop 1
	v_addc_co_u32_e32 v4, vcc, 0, v6, vcc
	v_lshlrev_b32_e32 v5, 2, v4
	ds_bpermute_b32 v4, v5, v2
	ds_bpermute_b32 v5, v5, v3
	v_cmp_gt_u32_e32 vcc, 62, v7
	s_waitcnt lgkmcnt(0)
	v_pk_add_f32 v[2:3], v[2:3], v[4:5]
	v_cndmask_b32_e64 v8, 0, 2, vcc
	v_add_lshl_u32 v8, v8, v6, 2
	ds_bpermute_b32 v4, v8, v2
	ds_bpermute_b32 v5, v8, v3
	v_cmp_gt_u32_e32 vcc, 60, v7
	s_waitcnt lgkmcnt(0)
	v_pk_add_f32 v[2:3], v[2:3], v[4:5]
	v_cndmask_b32_e64 v4, 0, 4, vcc
	v_add_lshl_u32 v5, v4, v6, 2
	;; [unrolled: 7-line block ×4, first 2 shown]
	ds_bpermute_b32 v4, v7, v2
	ds_bpermute_b32 v5, v7, v3
	v_mov_b32_e32 v7, 0x80
	v_lshl_or_b32 v6, v6, 2, v7
	s_waitcnt lgkmcnt(0)
	v_pk_add_f32 v[2:3], v[2:3], v[4:5]
	ds_bpermute_b32 v4, v6, v2
	ds_bpermute_b32 v5, v6, v3
	v_and_b32_e32 v6, 63, v0
	v_cmp_eq_u32_e32 vcc, 0, v6
	s_waitcnt lgkmcnt(0)
	v_pk_add_f32 v[2:3], v[2:3], v[4:5]
	s_and_saveexec_b64 s[6:7], vcc
; %bb.7:
	v_lshrrev_b32_e32 v4, 3, v0
	ds_write_b64 v4, v[2:3]
; %bb.8:
	s_or_b64 exec, exec, s[6:7]
	v_cmp_eq_u32_e32 vcc, 0, v0
	s_waitcnt lgkmcnt(0)
	s_barrier
	s_and_saveexec_b64 s[6:7], vcc
	s_cbranch_execz .LBB18_10
; %bb.9:
	v_mov_b32_e32 v16, 0
	ds_read2_b64 v[4:7], v16 offset0:1 offset1:2
	ds_read2_b64 v[8:11], v16 offset0:3 offset1:4
	;; [unrolled: 1-line block ×3, first 2 shown]
	s_waitcnt lgkmcnt(2)
	v_pk_add_f32 v[2:3], v[2:3], v[4:5]
	s_nop 0
	v_pk_add_f32 v[2:3], v[2:3], v[6:7]
	ds_read_b64 v[4:5], v16 offset:56
	s_waitcnt lgkmcnt(2)
	v_pk_add_f32 v[2:3], v[2:3], v[8:9]
	s_nop 0
	v_pk_add_f32 v[2:3], v[2:3], v[10:11]
	s_waitcnt lgkmcnt(1)
	v_pk_add_f32 v[2:3], v[2:3], v[12:13]
	s_nop 0
	v_pk_add_f32 v[2:3], v[2:3], v[14:15]
	s_waitcnt lgkmcnt(0)
	v_pk_add_f32 v[2:3], v[2:3], v[4:5]
	ds_write_b64 v16, v[2:3]
.LBB18_10:
	s_or_b64 exec, exec, s[6:7]
	s_waitcnt lgkmcnt(0)
	s_barrier
	s_and_saveexec_b64 s[16:17], vcc
	s_cbranch_execz .LBB18_16
; %bb.11:
	s_lshl_b64 s[6:7], s[22:23], 3
	s_add_u32 s22, s4, s6
	s_addc_u32 s23, s5, s7
	v_mov_b64_e32 v[2:3], s[22:23]
	flat_load_dword v2, v[2:3] offset:4
	s_load_dwordx4 s[4:7], s[0:1], 0x58
	v_mov_b32_e32 v3, 0
	ds_read_b32 v5, v3
	s_mov_b64 s[26:27], 0
	s_waitcnt lgkmcnt(0)
	s_mul_i32 s1, s7, s24
	s_mul_hi_u32 s7, s6, s24
	s_mul_i32 s0, s6, s24
	s_add_i32 s1, s7, s1
	s_lshl_b64 s[0:1], s[0:1], 3
	s_add_u32 s24, s4, s0
	s_addc_u32 s25, s5, s1
	v_max_f32_e32 v6, v5, v5
	s_cmp_lg_u64 s[20:21], 0
	s_cselect_b64 s[0:1], -1, 0
	s_waitcnt vmcnt(0)
	v_mul_f32_e32 v4, v2, v2
	v_max_f32_e32 v6, v6, v4
	v_cmp_nlt_f32_e32 vcc, 0, v6
	s_and_saveexec_b64 s[4:5], vcc
	s_xor_b64 s[4:5], exec, s[4:5]
	s_cbranch_execz .LBB18_20
; %bb.12:
	v_mov_b32_e32 v2, 1.0
	v_mov_b32_e32 v4, v3
	v_mov_b32_e32 v5, v3
	s_and_b64 vcc, exec, s[0:1]
	ds_write_b64 v3, v[2:3]
	global_store_dwordx2 v3, v[4:5], s[24:25]
	s_cbranch_vccz .LBB18_25
; %bb.13:
	v_mov_b64_e32 v[4:5], s[22:23]
	flat_load_dword v3, v[4:5]
	v_mov_b32_e32 v6, 0
	s_mov_b64 s[6:7], -1
	s_waitcnt vmcnt(0) lgkmcnt(0)
	global_store_dword v6, v3, s[20:21]
	flat_store_dword v[4:5], v2
	s_and_b64 s[26:27], s[6:7], exec
                                        ; implicit-def: $vgpr4
                                        ; implicit-def: $vgpr5
                                        ; implicit-def: $vgpr2
	s_andn2_saveexec_b64 s[28:29], s[4:5]
	s_cbranch_execnz .LBB18_21
.LBB18_14:
	s_or_b64 exec, exec, s[28:29]
	s_and_b64 exec, exec, s[26:27]
	s_cbranch_execz .LBB18_16
.LBB18_15:
	v_mov_b32_e32 v4, 0
	v_mov_b64_e32 v[2:3], s[22:23]
	flat_store_dword v[2:3], v4 offset:4
.LBB18_16:
	s_or_b64 exec, exec, s[16:17]
	s_waitcnt lgkmcnt(0)
	s_barrier
	s_and_saveexec_b64 s[0:1], s[2:3]
	s_cbranch_execz .LBB18_19
; %bb.17:
	v_mov_b32_e32 v2, 0
	v_mad_u64_u32 v[6:7], s[0:1], s14, v0, 0
	ds_read_b64 v[2:3], v2
	v_mov_b32_e32 v8, v7
	v_mad_u64_u32 v[8:9], s[0:1], s15, v0, v[8:9]
	s_lshl_b64 s[0:1], s[12:13], 3
	s_add_u32 s0, s18, s0
	v_mov_b32_e32 v7, v8
	s_addc_u32 s1, s19, s1
	s_waitcnt lgkmcnt(0)
	v_mov_b32_e32 v4, v3
	v_mov_b32_e32 v5, v2
	v_lshl_add_u64 v[6:7], v[6:7], 3, s[0:1]
	s_lshl_b64 s[0:1], s[14:15], 12
	s_mov_b64 s[2:3], 0
	s_mov_b64 s[4:5], 0x200
.LBB18_18:                              ; =>This Inner Loop Header: Depth=1
	flat_load_dwordx2 v[8:9], v[6:7]
	v_lshl_add_u64 v[0:1], v[0:1], 0, s[4:5]
	v_cmp_le_i64_e32 vcc, s[10:11], v[0:1]
	s_or_b64 s[2:3], vcc, s[2:3]
	s_waitcnt vmcnt(0) lgkmcnt(0)
	v_pk_mul_f32 v[10:11], v[4:5], v[8:9] op_sel:[0,1]
	s_nop 0
	v_pk_fma_f32 v[12:13], v[2:3], v[8:9], v[10:11] neg_lo:[0,0,1] neg_hi:[0,0,1]
	v_pk_fma_f32 v[8:9], v[2:3], v[8:9], v[10:11] op_sel_hi:[1,0,1]
	s_nop 0
	v_mov_b32_e32 v13, v9
	flat_store_dwordx2 v[6:7], v[12:13]
	v_lshl_add_u64 v[6:7], v[6:7], 0, s[0:1]
	s_andn2_b64 exec, exec, s[2:3]
	s_cbranch_execnz .LBB18_18
.LBB18_19:
	s_endpgm
.LBB18_20:
	s_andn2_saveexec_b64 s[28:29], s[4:5]
	s_cbranch_execz .LBB18_14
.LBB18_21:
	v_mov_b64_e32 v[6:7], s[22:23]
	flat_load_dword v6, v[6:7]
	s_mov_b32 s4, 0xf800000
	v_mov_b32_e32 v8, 0x260
	s_and_b64 s[0:1], exec, s[0:1]
	s_waitcnt vmcnt(0) lgkmcnt(0)
	v_fma_f32 v3, v6, v6, v4
	v_add_f32_e32 v3, v5, v3
	v_mul_f32_e32 v5, 0x4f800000, v3
	v_cmp_gt_f32_e32 vcc, s4, v3
	s_nop 1
	v_cndmask_b32_e32 v5, v3, v5, vcc
	v_sqrt_f32_e32 v7, v5
	v_mov_b32_e32 v3, 0
	v_add_u32_e32 v9, -1, v7
	v_add_u32_e32 v10, 1, v7
	v_fma_f32 v11, -v9, v7, v5
	v_fma_f32 v12, -v10, v7, v5
	v_cmp_ge_f32_e64 s[4:5], 0, v11
	s_nop 1
	v_cndmask_b32_e64 v7, v7, v9, s[4:5]
	v_cmp_lt_f32_e64 s[4:5], 0, v12
	s_nop 1
	v_cndmask_b32_e64 v7, v7, v10, s[4:5]
	v_mul_f32_e32 v9, 0x37800000, v7
	v_cndmask_b32_e32 v7, v7, v9, vcc
	v_cmp_class_f32_e32 vcc, v5, v8
	s_nop 1
	v_cndmask_b32_e32 v5, v7, v5, vcc
	v_cmp_le_f32_e32 vcc, 0, v6
	s_nop 1
	v_cndmask_b32_e64 v5, v5, -v5, vcc
	v_sub_f32_e32 v7, v6, v5
	v_sub_f32_e32 v8, v5, v6
	v_div_scale_f32 v6, s[4:5], v5, v5, -v2
	v_fmac_f32_e32 v4, v7, v7
	v_div_scale_f32 v10, s[6:7], v5, v5, v8
	v_rcp_f32_e32 v12, v6
	v_div_scale_f32 v13, s[8:9], v4, v4, v7
	v_div_scale_f32 v15, s[8:9], v4, v4, -v2
	v_rcp_f32_e32 v17, v10
	v_rcp_f32_e32 v18, v13
	;; [unrolled: 1-line block ×3, first 2 shown]
	v_fma_f32 v20, -v6, v12, 1.0
	v_div_scale_f32 v9, s[4:5], -v2, v5, -v2
	v_fma_f32 v21, -v10, v17, 1.0
	v_fmac_f32_e32 v12, v20, v12
	v_fma_f32 v20, -v13, v18, 1.0
	v_div_scale_f32 v14, vcc, v7, v4, v7
	v_fma_f32 v22, -v15, v19, 1.0
	v_fmac_f32_e32 v17, v21, v17
	v_mul_f32_e32 v21, v9, v12
	v_fmac_f32_e32 v18, v20, v18
	v_div_scale_f32 v11, s[6:7], v8, v5, v8
	v_div_scale_f32 v16, s[8:9], -v2, v4, -v2
	v_fmac_f32_e32 v19, v22, v19
	v_fma_f32 v22, -v6, v21, v9
	v_mul_f32_e32 v23, v14, v18
	v_mul_f32_e32 v20, v11, v17
	;; [unrolled: 1-line block ×3, first 2 shown]
	v_fmac_f32_e32 v21, v22, v12
	v_fma_f32 v22, -v13, v23, v14
	v_fma_f32 v25, -v10, v20, v11
	v_fma_f32 v26, -v15, v24, v16
	v_fmac_f32_e32 v23, v22, v18
	v_fmac_f32_e32 v20, v25, v17
	v_fma_f32 v9, -v6, v21, v9
	v_fmac_f32_e32 v24, v26, v19
	v_fma_f32 v6, -v13, v23, v14
	v_fma_f32 v10, -v10, v20, v11
	;; [unrolled: 1-line block ×3, first 2 shown]
	v_div_fmas_f32 v6, v6, v18, v23
	s_mov_b64 vcc, s[8:9]
	v_div_fixup_f32 v6, v6, v4, v7
	v_div_fmas_f32 v7, v11, v19, v24
	s_mov_b64 vcc, s[6:7]
	v_div_fixup_f32 v7, v7, v4, -v2
	v_div_fmas_f32 v4, v10, v17, v20
	s_mov_b64 vcc, s[4:5]
	ds_write_b64 v3, v[6:7]
	v_div_fixup_f32 v6, v4, v5, v8
	v_div_fmas_f32 v4, v9, v12, v21
	v_div_fixup_f32 v7, v4, v5, -v2
	s_mov_b64 vcc, s[0:1]
	global_store_dwordx2 v3, v[6:7], s[24:25]
	s_cbranch_vccz .LBB18_26
; %bb.22:
	global_store_dword v3, v5, s[20:21]
	v_mov_b32_e32 v4, 1.0
	v_mov_b64_e32 v[2:3], s[22:23]
	flat_store_dword v[2:3], v4
	s_cbranch_execnz .LBB18_24
.LBB18_23:
	v_mov_b64_e32 v[2:3], s[22:23]
	flat_store_dword v[2:3], v5
.LBB18_24:
	s_or_b64 s[26:27], s[26:27], exec
	s_or_b64 exec, exec, s[28:29]
	s_and_b64 exec, exec, s[26:27]
	s_cbranch_execnz .LBB18_15
	s_branch .LBB18_16
.LBB18_25:
	s_mov_b64 s[6:7], 0
	s_and_b64 s[26:27], s[6:7], exec
                                        ; implicit-def: $vgpr4
                                        ; implicit-def: $vgpr5
                                        ; implicit-def: $vgpr2
	s_andn2_saveexec_b64 s[28:29], s[4:5]
	s_cbranch_execz .LBB18_14
	s_branch .LBB18_21
.LBB18_26:
	s_branch .LBB18_23
	.section	.rodata,"a",@progbits
	.p2align	6, 0x0
	.amdhsa_kernel _ZN9rocsolver6v33100L18larfg_kernel_smallILi512E19rocblas_complex_numIfElfPKPS3_EEvT1_T3_llPT2_llS8_lS7_lPT0_l
		.amdhsa_group_segment_fixed_size 64
		.amdhsa_private_segment_fixed_size 0
		.amdhsa_kernarg_size 104
		.amdhsa_user_sgpr_count 2
		.amdhsa_user_sgpr_dispatch_ptr 0
		.amdhsa_user_sgpr_queue_ptr 0
		.amdhsa_user_sgpr_kernarg_segment_ptr 1
		.amdhsa_user_sgpr_dispatch_id 0
		.amdhsa_user_sgpr_kernarg_preload_length 0
		.amdhsa_user_sgpr_kernarg_preload_offset 0
		.amdhsa_user_sgpr_private_segment_size 0
		.amdhsa_uses_dynamic_stack 0
		.amdhsa_enable_private_segment 0
		.amdhsa_system_sgpr_workgroup_id_x 1
		.amdhsa_system_sgpr_workgroup_id_y 0
		.amdhsa_system_sgpr_workgroup_id_z 1
		.amdhsa_system_sgpr_workgroup_info 0
		.amdhsa_system_vgpr_workitem_id 0
		.amdhsa_next_free_vgpr 27
		.amdhsa_next_free_sgpr 30
		.amdhsa_accum_offset 28
		.amdhsa_reserve_vcc 1
		.amdhsa_float_round_mode_32 0
		.amdhsa_float_round_mode_16_64 0
		.amdhsa_float_denorm_mode_32 3
		.amdhsa_float_denorm_mode_16_64 3
		.amdhsa_dx10_clamp 1
		.amdhsa_ieee_mode 1
		.amdhsa_fp16_overflow 0
		.amdhsa_tg_split 0
		.amdhsa_exception_fp_ieee_invalid_op 0
		.amdhsa_exception_fp_denorm_src 0
		.amdhsa_exception_fp_ieee_div_zero 0
		.amdhsa_exception_fp_ieee_overflow 0
		.amdhsa_exception_fp_ieee_underflow 0
		.amdhsa_exception_fp_ieee_inexact 0
		.amdhsa_exception_int_div_zero 0
	.end_amdhsa_kernel
	.section	.text._ZN9rocsolver6v33100L18larfg_kernel_smallILi512E19rocblas_complex_numIfElfPKPS3_EEvT1_T3_llPT2_llS8_lS7_lPT0_l,"axG",@progbits,_ZN9rocsolver6v33100L18larfg_kernel_smallILi512E19rocblas_complex_numIfElfPKPS3_EEvT1_T3_llPT2_llS8_lS7_lPT0_l,comdat
.Lfunc_end18:
	.size	_ZN9rocsolver6v33100L18larfg_kernel_smallILi512E19rocblas_complex_numIfElfPKPS3_EEvT1_T3_llPT2_llS8_lS7_lPT0_l, .Lfunc_end18-_ZN9rocsolver6v33100L18larfg_kernel_smallILi512E19rocblas_complex_numIfElfPKPS3_EEvT1_T3_llPT2_llS8_lS7_lPT0_l
                                        ; -- End function
	.set _ZN9rocsolver6v33100L18larfg_kernel_smallILi512E19rocblas_complex_numIfElfPKPS3_EEvT1_T3_llPT2_llS8_lS7_lPT0_l.num_vgpr, 27
	.set _ZN9rocsolver6v33100L18larfg_kernel_smallILi512E19rocblas_complex_numIfElfPKPS3_EEvT1_T3_llPT2_llS8_lS7_lPT0_l.num_agpr, 0
	.set _ZN9rocsolver6v33100L18larfg_kernel_smallILi512E19rocblas_complex_numIfElfPKPS3_EEvT1_T3_llPT2_llS8_lS7_lPT0_l.numbered_sgpr, 30
	.set _ZN9rocsolver6v33100L18larfg_kernel_smallILi512E19rocblas_complex_numIfElfPKPS3_EEvT1_T3_llPT2_llS8_lS7_lPT0_l.num_named_barrier, 0
	.set _ZN9rocsolver6v33100L18larfg_kernel_smallILi512E19rocblas_complex_numIfElfPKPS3_EEvT1_T3_llPT2_llS8_lS7_lPT0_l.private_seg_size, 0
	.set _ZN9rocsolver6v33100L18larfg_kernel_smallILi512E19rocblas_complex_numIfElfPKPS3_EEvT1_T3_llPT2_llS8_lS7_lPT0_l.uses_vcc, 1
	.set _ZN9rocsolver6v33100L18larfg_kernel_smallILi512E19rocblas_complex_numIfElfPKPS3_EEvT1_T3_llPT2_llS8_lS7_lPT0_l.uses_flat_scratch, 0
	.set _ZN9rocsolver6v33100L18larfg_kernel_smallILi512E19rocblas_complex_numIfElfPKPS3_EEvT1_T3_llPT2_llS8_lS7_lPT0_l.has_dyn_sized_stack, 0
	.set _ZN9rocsolver6v33100L18larfg_kernel_smallILi512E19rocblas_complex_numIfElfPKPS3_EEvT1_T3_llPT2_llS8_lS7_lPT0_l.has_recursion, 0
	.set _ZN9rocsolver6v33100L18larfg_kernel_smallILi512E19rocblas_complex_numIfElfPKPS3_EEvT1_T3_llPT2_llS8_lS7_lPT0_l.has_indirect_call, 0
	.section	.AMDGPU.csdata,"",@progbits
; Kernel info:
; codeLenInByte = 1868
; TotalNumSgprs: 36
; NumVgprs: 27
; NumAgprs: 0
; TotalNumVgprs: 27
; ScratchSize: 0
; MemoryBound: 0
; FloatMode: 240
; IeeeMode: 1
; LDSByteSize: 64 bytes/workgroup (compile time only)
; SGPRBlocks: 4
; VGPRBlocks: 3
; NumSGPRsForWavesPerEU: 36
; NumVGPRsForWavesPerEU: 27
; AccumOffset: 28
; Occupancy: 8
; WaveLimiterHint : 1
; COMPUTE_PGM_RSRC2:SCRATCH_EN: 0
; COMPUTE_PGM_RSRC2:USER_SGPR: 2
; COMPUTE_PGM_RSRC2:TRAP_HANDLER: 0
; COMPUTE_PGM_RSRC2:TGID_X_EN: 1
; COMPUTE_PGM_RSRC2:TGID_Y_EN: 0
; COMPUTE_PGM_RSRC2:TGID_Z_EN: 1
; COMPUTE_PGM_RSRC2:TIDIG_COMP_CNT: 0
; COMPUTE_PGM_RSRC3_GFX90A:ACCUM_OFFSET: 6
; COMPUTE_PGM_RSRC3_GFX90A:TG_SPLIT: 0
	.section	.text._ZN9rocsolver6v33100L18larfg_kernel_smallILi1024E19rocblas_complex_numIfElfPKPS3_EEvT1_T3_llPT2_llS8_lS7_lPT0_l,"axG",@progbits,_ZN9rocsolver6v33100L18larfg_kernel_smallILi1024E19rocblas_complex_numIfElfPKPS3_EEvT1_T3_llPT2_llS8_lS7_lPT0_l,comdat
	.globl	_ZN9rocsolver6v33100L18larfg_kernel_smallILi1024E19rocblas_complex_numIfElfPKPS3_EEvT1_T3_llPT2_llS8_lS7_lPT0_l ; -- Begin function _ZN9rocsolver6v33100L18larfg_kernel_smallILi1024E19rocblas_complex_numIfElfPKPS3_EEvT1_T3_llPT2_llS8_lS7_lPT0_l
	.p2align	8
	.type	_ZN9rocsolver6v33100L18larfg_kernel_smallILi1024E19rocblas_complex_numIfElfPKPS3_EEvT1_T3_llPT2_llS8_lS7_lPT0_l,@function
_ZN9rocsolver6v33100L18larfg_kernel_smallILi1024E19rocblas_complex_numIfElfPKPS3_EEvT1_T3_llPT2_llS8_lS7_lPT0_l: ; @_ZN9rocsolver6v33100L18larfg_kernel_smallILi1024E19rocblas_complex_numIfElfPKPS3_EEvT1_T3_llPT2_llS8_lS7_lPT0_l
; %bb.0:
	s_mov_b32 s22, s3
	s_load_dwordx4 s[16:19], s[0:1], 0x0
	s_load_dwordx2 s[24:25], s[0:1], 0x10
	s_load_dwordx8 s[4:11], s[0:1], 0x20
	s_load_dwordx4 s[12:15], s[0:1], 0x40
	s_mov_b32 s23, 0
	s_lshl_b64 s[20:21], s[22:23], 3
	s_waitcnt lgkmcnt(0)
	s_add_u32 s2, s18, s20
	s_addc_u32 s3, s19, s21
	s_add_u32 s10, s10, s20
	s_addc_u32 s11, s11, s21
	s_load_dwordx2 s[18:19], s[10:11], 0x0
	s_cmp_eq_u64 s[4:5], 0
	s_mov_b64 s[20:21], 0
	s_cbranch_scc1 .LBB19_2
; %bb.1:
	s_mul_i32 s9, s9, s22
	s_mul_hi_u32 s10, s8, s22
	s_add_i32 s9, s10, s9
	s_mul_i32 s8, s8, s22
	s_lshl_b64 s[8:9], s[8:9], 2
	s_add_u32 s8, s4, s8
	s_addc_u32 s9, s5, s9
	s_lshl_b64 s[4:5], s[6:7], 2
	s_add_u32 s20, s8, s4
	s_addc_u32 s21, s9, s5
.LBB19_2:
	s_load_dwordx2 s[4:5], s[2:3], 0x0
	s_add_u32 s10, s16, -1
	v_mov_b32_e32 v1, 0
	s_addc_u32 s11, s17, -1
	v_cmp_gt_i64_e64 s[2:3], s[10:11], v[0:1]
	v_mov_b32_e32 v5, v1
	v_mov_b32_e32 v4, v1
	s_and_saveexec_b64 s[6:7], s[2:3]
	s_cbranch_execz .LBB19_6
; %bb.3:
	v_mad_u64_u32 v[2:3], s[8:9], s14, v0, 0
	v_mov_b32_e32 v4, v3
	v_mad_u64_u32 v[4:5], s[8:9], s15, v0, v[4:5]
	s_lshl_b64 s[8:9], s[12:13], 3
	s_waitcnt lgkmcnt(0)
	s_add_u32 s8, s18, s8
	v_mov_b32_e32 v3, v4
	s_addc_u32 s9, s19, s9
	v_lshl_add_u64 v[4:5], v[2:3], 3, s[8:9]
	v_mov_b32_e32 v2, 0
	s_lshl_b64 s[8:9], s[14:15], 13
	s_mov_b64 s[16:17], 0
	s_mov_b64 s[26:27], 0x400
	v_mov_b64_e32 v[6:7], v[0:1]
	v_mov_b32_e32 v3, v2
.LBB19_4:                               ; =>This Inner Loop Header: Depth=1
	flat_load_dwordx2 v[8:9], v[4:5]
	v_lshl_add_u64 v[6:7], v[6:7], 0, s[26:27]
	v_cmp_le_i64_e32 vcc, s[10:11], v[6:7]
	v_lshl_add_u64 v[4:5], v[4:5], 0, s[8:9]
	s_or_b64 s[16:17], vcc, s[16:17]
	s_waitcnt vmcnt(0) lgkmcnt(0)
	v_pk_mul_f32 v[10:11], v[8:9], v[8:9] op_sel:[0,1] op_sel_hi:[0,0]
	v_pk_fma_f32 v[12:13], v[8:9], v[8:9], v[10:11] op_sel:[1,0,0] neg_lo:[0,0,1] neg_hi:[0,0,1]
	v_pk_fma_f32 v[8:9], v[8:9], v[8:9], v[10:11] op_sel:[1,0,0]
	s_nop 0
	v_mov_b32_e32 v13, v9
	v_pk_add_f32 v[2:3], v[2:3], v[12:13]
	s_andn2_b64 exec, exec, s[16:17]
	s_cbranch_execnz .LBB19_4
; %bb.5:
	s_or_b64 exec, exec, s[16:17]
	v_mov_b32_e32 v5, v2
	v_mov_b32_e32 v4, v3
.LBB19_6:
	s_or_b64 exec, exec, s[6:7]
	v_mbcnt_lo_u32_b32 v2, -1, 0
	v_mbcnt_hi_u32_b32 v6, -1, v2
	v_and_b32_e32 v7, 63, v6
	v_cmp_ne_u32_e32 vcc, 63, v7
	s_nop 1
	v_addc_co_u32_e32 v2, vcc, 0, v6, vcc
	v_lshlrev_b32_e32 v3, 2, v2
	ds_bpermute_b32 v2, v3, v4
	ds_bpermute_b32 v3, v3, v5
	v_cmp_gt_u32_e32 vcc, 62, v7
	s_waitcnt lgkmcnt(0)
	v_pk_add_f32 v[2:3], v[4:5], v[2:3]
	v_cndmask_b32_e64 v8, 0, 2, vcc
	v_add_lshl_u32 v8, v8, v6, 2
	ds_bpermute_b32 v4, v8, v2
	ds_bpermute_b32 v5, v8, v3
	v_cmp_gt_u32_e32 vcc, 60, v7
	s_waitcnt lgkmcnt(0)
	v_pk_add_f32 v[2:3], v[2:3], v[4:5]
	v_cndmask_b32_e64 v8, 0, 4, vcc
	v_add_lshl_u32 v8, v8, v6, 2
	ds_bpermute_b32 v4, v8, v2
	ds_bpermute_b32 v5, v8, v3
	v_cmp_gt_u32_e32 vcc, 56, v7
	s_waitcnt lgkmcnt(0)
	v_pk_add_f32 v[2:3], v[2:3], v[4:5]
	v_cndmask_b32_e64 v8, 0, 8, vcc
	v_add_lshl_u32 v8, v8, v6, 2
	ds_bpermute_b32 v4, v8, v2
	ds_bpermute_b32 v5, v8, v3
	v_cmp_gt_u32_e32 vcc, 48, v7
	s_waitcnt lgkmcnt(0)
	v_pk_add_f32 v[2:3], v[2:3], v[4:5]
	v_cndmask_b32_e64 v7, 0, 16, vcc
	v_add_lshl_u32 v7, v7, v6, 2
	ds_bpermute_b32 v4, v7, v2
	ds_bpermute_b32 v5, v7, v3
	v_mov_b32_e32 v7, 0x80
	v_lshl_or_b32 v6, v6, 2, v7
	s_waitcnt lgkmcnt(0)
	v_pk_add_f32 v[2:3], v[2:3], v[4:5]
	ds_bpermute_b32 v4, v6, v2
	ds_bpermute_b32 v5, v6, v3
	v_and_b32_e32 v6, 63, v0
	v_cmp_eq_u32_e32 vcc, 0, v6
	s_waitcnt lgkmcnt(0)
	v_pk_add_f32 v[2:3], v[2:3], v[4:5]
	s_and_saveexec_b64 s[6:7], vcc
; %bb.7:
	v_lshrrev_b32_e32 v4, 3, v0
	ds_write_b64 v4, v[2:3]
; %bb.8:
	s_or_b64 exec, exec, s[6:7]
	v_cmp_eq_u32_e32 vcc, 0, v0
	s_waitcnt lgkmcnt(0)
	s_barrier
	s_and_saveexec_b64 s[6:7], vcc
	s_cbranch_execz .LBB19_10
; %bb.9:
	v_mov_b32_e32 v24, 0
	ds_read2_b64 v[4:7], v24 offset0:1 offset1:2
	ds_read2_b64 v[8:11], v24 offset0:3 offset1:4
	;; [unrolled: 1-line block ×5, first 2 shown]
	s_waitcnt lgkmcnt(4)
	v_pk_add_f32 v[2:3], v[2:3], v[4:5]
	s_nop 0
	v_pk_add_f32 v[2:3], v[2:3], v[6:7]
	s_waitcnt lgkmcnt(3)
	v_pk_add_f32 v[2:3], v[2:3], v[8:9]
	s_nop 0
	v_pk_add_f32 v[2:3], v[2:3], v[10:11]
	s_waitcnt lgkmcnt(2)
	v_pk_add_f32 v[2:3], v[2:3], v[12:13]
	ds_read_b64 v[12:13], v24 offset:120
	v_pk_add_f32 v[2:3], v[2:3], v[14:15]
	s_waitcnt lgkmcnt(2)
	v_pk_add_f32 v[2:3], v[2:3], v[16:17]
	s_nop 0
	v_pk_add_f32 v[6:7], v[2:3], v[18:19]
	ds_read2_b64 v[2:5], v24 offset0:11 offset1:12
	s_waitcnt lgkmcnt(2)
	v_pk_add_f32 v[10:11], v[6:7], v[20:21]
	ds_read2_b64 v[6:9], v24 offset0:13 offset1:14
	v_pk_add_f32 v[10:11], v[10:11], v[22:23]
	s_waitcnt lgkmcnt(1)
	v_pk_add_f32 v[2:3], v[10:11], v[2:3]
	s_nop 0
	v_pk_add_f32 v[2:3], v[2:3], v[4:5]
	s_waitcnt lgkmcnt(0)
	v_pk_add_f32 v[2:3], v[2:3], v[6:7]
	s_nop 0
	v_pk_add_f32 v[2:3], v[2:3], v[8:9]
	s_nop 0
	v_pk_add_f32 v[2:3], v[2:3], v[12:13]
	ds_write_b64 v24, v[2:3]
.LBB19_10:
	s_or_b64 exec, exec, s[6:7]
	s_waitcnt lgkmcnt(0)
	s_barrier
	s_and_saveexec_b64 s[16:17], vcc
	s_cbranch_execz .LBB19_16
; %bb.11:
	s_lshl_b64 s[6:7], s[24:25], 3
	s_add_u32 s24, s4, s6
	s_addc_u32 s25, s5, s7
	v_mov_b64_e32 v[2:3], s[24:25]
	flat_load_dword v2, v[2:3] offset:4
	s_load_dwordx4 s[4:7], s[0:1], 0x58
	v_mov_b32_e32 v3, 0
	ds_read_b32 v5, v3
	s_mov_b64 s[26:27], 0
	s_waitcnt lgkmcnt(0)
	s_mul_i32 s1, s7, s22
	s_mul_hi_u32 s7, s6, s22
	s_mul_i32 s0, s6, s22
	s_add_i32 s1, s7, s1
	s_lshl_b64 s[0:1], s[0:1], 3
	s_add_u32 s22, s4, s0
	s_addc_u32 s23, s5, s1
	v_max_f32_e32 v6, v5, v5
	s_cmp_lg_u64 s[20:21], 0
	s_cselect_b64 s[0:1], -1, 0
	s_waitcnt vmcnt(0)
	v_mul_f32_e32 v4, v2, v2
	v_max_f32_e32 v6, v6, v4
	v_cmp_nlt_f32_e32 vcc, 0, v6
	s_and_saveexec_b64 s[4:5], vcc
	s_xor_b64 s[4:5], exec, s[4:5]
	s_cbranch_execz .LBB19_20
; %bb.12:
	v_mov_b32_e32 v2, 1.0
	v_mov_b32_e32 v4, v3
	v_mov_b32_e32 v5, v3
	s_and_b64 vcc, exec, s[0:1]
	ds_write_b64 v3, v[2:3]
	global_store_dwordx2 v3, v[4:5], s[22:23]
	s_cbranch_vccz .LBB19_25
; %bb.13:
	v_mov_b64_e32 v[4:5], s[24:25]
	flat_load_dword v3, v[4:5]
	v_mov_b32_e32 v6, 0
	s_mov_b64 s[6:7], -1
	s_waitcnt vmcnt(0) lgkmcnt(0)
	global_store_dword v6, v3, s[20:21]
	flat_store_dword v[4:5], v2
	s_and_b64 s[26:27], s[6:7], exec
                                        ; implicit-def: $vgpr4
                                        ; implicit-def: $vgpr5
                                        ; implicit-def: $vgpr2
	s_andn2_saveexec_b64 s[28:29], s[4:5]
	s_cbranch_execnz .LBB19_21
.LBB19_14:
	s_or_b64 exec, exec, s[28:29]
	s_and_b64 exec, exec, s[26:27]
	s_cbranch_execz .LBB19_16
.LBB19_15:
	v_mov_b32_e32 v4, 0
	v_mov_b64_e32 v[2:3], s[24:25]
	flat_store_dword v[2:3], v4 offset:4
.LBB19_16:
	s_or_b64 exec, exec, s[16:17]
	s_waitcnt lgkmcnt(0)
	s_barrier
	s_and_saveexec_b64 s[0:1], s[2:3]
	s_cbranch_execz .LBB19_19
; %bb.17:
	v_mov_b32_e32 v2, 0
	v_mad_u64_u32 v[6:7], s[0:1], s14, v0, 0
	ds_read_b64 v[2:3], v2
	v_mov_b32_e32 v8, v7
	v_mad_u64_u32 v[8:9], s[0:1], s15, v0, v[8:9]
	s_lshl_b64 s[0:1], s[12:13], 3
	s_add_u32 s0, s18, s0
	v_mov_b32_e32 v7, v8
	s_addc_u32 s1, s19, s1
	s_waitcnt lgkmcnt(0)
	v_mov_b32_e32 v4, v3
	v_mov_b32_e32 v5, v2
	v_lshl_add_u64 v[6:7], v[6:7], 3, s[0:1]
	s_lshl_b64 s[0:1], s[14:15], 13
	s_mov_b64 s[2:3], 0
	s_mov_b64 s[4:5], 0x400
.LBB19_18:                              ; =>This Inner Loop Header: Depth=1
	flat_load_dwordx2 v[8:9], v[6:7]
	v_lshl_add_u64 v[0:1], v[0:1], 0, s[4:5]
	v_cmp_le_i64_e32 vcc, s[10:11], v[0:1]
	s_or_b64 s[2:3], vcc, s[2:3]
	s_waitcnt vmcnt(0) lgkmcnt(0)
	v_pk_mul_f32 v[10:11], v[4:5], v[8:9] op_sel:[0,1]
	s_nop 0
	v_pk_fma_f32 v[12:13], v[2:3], v[8:9], v[10:11] neg_lo:[0,0,1] neg_hi:[0,0,1]
	v_pk_fma_f32 v[8:9], v[2:3], v[8:9], v[10:11] op_sel_hi:[1,0,1]
	s_nop 0
	v_mov_b32_e32 v13, v9
	flat_store_dwordx2 v[6:7], v[12:13]
	v_lshl_add_u64 v[6:7], v[6:7], 0, s[0:1]
	s_andn2_b64 exec, exec, s[2:3]
	s_cbranch_execnz .LBB19_18
.LBB19_19:
	s_endpgm
.LBB19_20:
	s_andn2_saveexec_b64 s[28:29], s[4:5]
	s_cbranch_execz .LBB19_14
.LBB19_21:
	v_mov_b64_e32 v[6:7], s[24:25]
	flat_load_dword v6, v[6:7]
	s_mov_b32 s4, 0xf800000
	v_mov_b32_e32 v8, 0x260
	s_and_b64 s[0:1], exec, s[0:1]
	s_waitcnt vmcnt(0) lgkmcnt(0)
	v_fma_f32 v3, v6, v6, v4
	v_add_f32_e32 v3, v5, v3
	v_mul_f32_e32 v5, 0x4f800000, v3
	v_cmp_gt_f32_e32 vcc, s4, v3
	s_nop 1
	v_cndmask_b32_e32 v5, v3, v5, vcc
	v_sqrt_f32_e32 v7, v5
	v_mov_b32_e32 v3, 0
	v_add_u32_e32 v9, -1, v7
	v_add_u32_e32 v10, 1, v7
	v_fma_f32 v11, -v9, v7, v5
	v_fma_f32 v12, -v10, v7, v5
	v_cmp_ge_f32_e64 s[4:5], 0, v11
	s_nop 1
	v_cndmask_b32_e64 v7, v7, v9, s[4:5]
	v_cmp_lt_f32_e64 s[4:5], 0, v12
	s_nop 1
	v_cndmask_b32_e64 v7, v7, v10, s[4:5]
	v_mul_f32_e32 v9, 0x37800000, v7
	v_cndmask_b32_e32 v7, v7, v9, vcc
	v_cmp_class_f32_e32 vcc, v5, v8
	s_nop 1
	v_cndmask_b32_e32 v5, v7, v5, vcc
	v_cmp_le_f32_e32 vcc, 0, v6
	s_nop 1
	v_cndmask_b32_e64 v5, v5, -v5, vcc
	v_sub_f32_e32 v7, v6, v5
	v_sub_f32_e32 v8, v5, v6
	v_div_scale_f32 v6, s[4:5], v5, v5, -v2
	v_fmac_f32_e32 v4, v7, v7
	v_div_scale_f32 v10, s[6:7], v5, v5, v8
	v_rcp_f32_e32 v12, v6
	v_div_scale_f32 v13, s[8:9], v4, v4, v7
	v_div_scale_f32 v15, s[8:9], v4, v4, -v2
	v_rcp_f32_e32 v17, v10
	v_rcp_f32_e32 v18, v13
	;; [unrolled: 1-line block ×3, first 2 shown]
	v_fma_f32 v20, -v6, v12, 1.0
	v_div_scale_f32 v9, s[4:5], -v2, v5, -v2
	v_fma_f32 v21, -v10, v17, 1.0
	v_fmac_f32_e32 v12, v20, v12
	v_fma_f32 v20, -v13, v18, 1.0
	v_div_scale_f32 v14, vcc, v7, v4, v7
	v_fma_f32 v22, -v15, v19, 1.0
	v_fmac_f32_e32 v17, v21, v17
	v_mul_f32_e32 v21, v9, v12
	v_fmac_f32_e32 v18, v20, v18
	v_div_scale_f32 v11, s[6:7], v8, v5, v8
	v_div_scale_f32 v16, s[8:9], -v2, v4, -v2
	v_fmac_f32_e32 v19, v22, v19
	v_fma_f32 v22, -v6, v21, v9
	v_mul_f32_e32 v23, v14, v18
	v_mul_f32_e32 v20, v11, v17
	;; [unrolled: 1-line block ×3, first 2 shown]
	v_fmac_f32_e32 v21, v22, v12
	v_fma_f32 v22, -v13, v23, v14
	v_fma_f32 v25, -v10, v20, v11
	v_fma_f32 v26, -v15, v24, v16
	v_fmac_f32_e32 v23, v22, v18
	v_fmac_f32_e32 v20, v25, v17
	v_fma_f32 v9, -v6, v21, v9
	v_fmac_f32_e32 v24, v26, v19
	v_fma_f32 v6, -v13, v23, v14
	v_fma_f32 v10, -v10, v20, v11
	;; [unrolled: 1-line block ×3, first 2 shown]
	v_div_fmas_f32 v6, v6, v18, v23
	s_mov_b64 vcc, s[8:9]
	v_div_fixup_f32 v6, v6, v4, v7
	v_div_fmas_f32 v7, v11, v19, v24
	s_mov_b64 vcc, s[6:7]
	v_div_fixup_f32 v7, v7, v4, -v2
	v_div_fmas_f32 v4, v10, v17, v20
	s_mov_b64 vcc, s[4:5]
	ds_write_b64 v3, v[6:7]
	v_div_fixup_f32 v6, v4, v5, v8
	v_div_fmas_f32 v4, v9, v12, v21
	v_div_fixup_f32 v7, v4, v5, -v2
	s_mov_b64 vcc, s[0:1]
	global_store_dwordx2 v3, v[6:7], s[22:23]
	s_cbranch_vccz .LBB19_26
; %bb.22:
	global_store_dword v3, v5, s[20:21]
	v_mov_b32_e32 v4, 1.0
	v_mov_b64_e32 v[2:3], s[24:25]
	flat_store_dword v[2:3], v4
	s_cbranch_execnz .LBB19_24
.LBB19_23:
	v_mov_b64_e32 v[2:3], s[24:25]
	flat_store_dword v[2:3], v5
.LBB19_24:
	s_or_b64 s[26:27], s[26:27], exec
	s_or_b64 exec, exec, s[28:29]
	s_and_b64 exec, exec, s[26:27]
	s_cbranch_execnz .LBB19_15
	s_branch .LBB19_16
.LBB19_25:
	s_mov_b64 s[6:7], 0
	s_and_b64 s[26:27], s[6:7], exec
                                        ; implicit-def: $vgpr4
                                        ; implicit-def: $vgpr5
                                        ; implicit-def: $vgpr2
	s_andn2_saveexec_b64 s[28:29], s[4:5]
	s_cbranch_execz .LBB19_14
	s_branch .LBB19_21
.LBB19_26:
	s_branch .LBB19_23
	.section	.rodata,"a",@progbits
	.p2align	6, 0x0
	.amdhsa_kernel _ZN9rocsolver6v33100L18larfg_kernel_smallILi1024E19rocblas_complex_numIfElfPKPS3_EEvT1_T3_llPT2_llS8_lS7_lPT0_l
		.amdhsa_group_segment_fixed_size 128
		.amdhsa_private_segment_fixed_size 0
		.amdhsa_kernarg_size 104
		.amdhsa_user_sgpr_count 2
		.amdhsa_user_sgpr_dispatch_ptr 0
		.amdhsa_user_sgpr_queue_ptr 0
		.amdhsa_user_sgpr_kernarg_segment_ptr 1
		.amdhsa_user_sgpr_dispatch_id 0
		.amdhsa_user_sgpr_kernarg_preload_length 0
		.amdhsa_user_sgpr_kernarg_preload_offset 0
		.amdhsa_user_sgpr_private_segment_size 0
		.amdhsa_uses_dynamic_stack 0
		.amdhsa_enable_private_segment 0
		.amdhsa_system_sgpr_workgroup_id_x 1
		.amdhsa_system_sgpr_workgroup_id_y 0
		.amdhsa_system_sgpr_workgroup_id_z 1
		.amdhsa_system_sgpr_workgroup_info 0
		.amdhsa_system_vgpr_workitem_id 0
		.amdhsa_next_free_vgpr 27
		.amdhsa_next_free_sgpr 30
		.amdhsa_accum_offset 28
		.amdhsa_reserve_vcc 1
		.amdhsa_float_round_mode_32 0
		.amdhsa_float_round_mode_16_64 0
		.amdhsa_float_denorm_mode_32 3
		.amdhsa_float_denorm_mode_16_64 3
		.amdhsa_dx10_clamp 1
		.amdhsa_ieee_mode 1
		.amdhsa_fp16_overflow 0
		.amdhsa_tg_split 0
		.amdhsa_exception_fp_ieee_invalid_op 0
		.amdhsa_exception_fp_denorm_src 0
		.amdhsa_exception_fp_ieee_div_zero 0
		.amdhsa_exception_fp_ieee_overflow 0
		.amdhsa_exception_fp_ieee_underflow 0
		.amdhsa_exception_fp_ieee_inexact 0
		.amdhsa_exception_int_div_zero 0
	.end_amdhsa_kernel
	.section	.text._ZN9rocsolver6v33100L18larfg_kernel_smallILi1024E19rocblas_complex_numIfElfPKPS3_EEvT1_T3_llPT2_llS8_lS7_lPT0_l,"axG",@progbits,_ZN9rocsolver6v33100L18larfg_kernel_smallILi1024E19rocblas_complex_numIfElfPKPS3_EEvT1_T3_llPT2_llS8_lS7_lPT0_l,comdat
.Lfunc_end19:
	.size	_ZN9rocsolver6v33100L18larfg_kernel_smallILi1024E19rocblas_complex_numIfElfPKPS3_EEvT1_T3_llPT2_llS8_lS7_lPT0_l, .Lfunc_end19-_ZN9rocsolver6v33100L18larfg_kernel_smallILi1024E19rocblas_complex_numIfElfPKPS3_EEvT1_T3_llPT2_llS8_lS7_lPT0_l
                                        ; -- End function
	.set _ZN9rocsolver6v33100L18larfg_kernel_smallILi1024E19rocblas_complex_numIfElfPKPS3_EEvT1_T3_llPT2_llS8_lS7_lPT0_l.num_vgpr, 27
	.set _ZN9rocsolver6v33100L18larfg_kernel_smallILi1024E19rocblas_complex_numIfElfPKPS3_EEvT1_T3_llPT2_llS8_lS7_lPT0_l.num_agpr, 0
	.set _ZN9rocsolver6v33100L18larfg_kernel_smallILi1024E19rocblas_complex_numIfElfPKPS3_EEvT1_T3_llPT2_llS8_lS7_lPT0_l.numbered_sgpr, 30
	.set _ZN9rocsolver6v33100L18larfg_kernel_smallILi1024E19rocblas_complex_numIfElfPKPS3_EEvT1_T3_llPT2_llS8_lS7_lPT0_l.num_named_barrier, 0
	.set _ZN9rocsolver6v33100L18larfg_kernel_smallILi1024E19rocblas_complex_numIfElfPKPS3_EEvT1_T3_llPT2_llS8_lS7_lPT0_l.private_seg_size, 0
	.set _ZN9rocsolver6v33100L18larfg_kernel_smallILi1024E19rocblas_complex_numIfElfPKPS3_EEvT1_T3_llPT2_llS8_lS7_lPT0_l.uses_vcc, 1
	.set _ZN9rocsolver6v33100L18larfg_kernel_smallILi1024E19rocblas_complex_numIfElfPKPS3_EEvT1_T3_llPT2_llS8_lS7_lPT0_l.uses_flat_scratch, 0
	.set _ZN9rocsolver6v33100L18larfg_kernel_smallILi1024E19rocblas_complex_numIfElfPKPS3_EEvT1_T3_llPT2_llS8_lS7_lPT0_l.has_dyn_sized_stack, 0
	.set _ZN9rocsolver6v33100L18larfg_kernel_smallILi1024E19rocblas_complex_numIfElfPKPS3_EEvT1_T3_llPT2_llS8_lS7_lPT0_l.has_recursion, 0
	.set _ZN9rocsolver6v33100L18larfg_kernel_smallILi1024E19rocblas_complex_numIfElfPKPS3_EEvT1_T3_llPT2_llS8_lS7_lPT0_l.has_indirect_call, 0
	.section	.AMDGPU.csdata,"",@progbits
; Kernel info:
; codeLenInByte = 2000
; TotalNumSgprs: 36
; NumVgprs: 27
; NumAgprs: 0
; TotalNumVgprs: 27
; ScratchSize: 0
; MemoryBound: 0
; FloatMode: 240
; IeeeMode: 1
; LDSByteSize: 128 bytes/workgroup (compile time only)
; SGPRBlocks: 4
; VGPRBlocks: 3
; NumSGPRsForWavesPerEU: 36
; NumVGPRsForWavesPerEU: 27
; AccumOffset: 28
; Occupancy: 8
; WaveLimiterHint : 1
; COMPUTE_PGM_RSRC2:SCRATCH_EN: 0
; COMPUTE_PGM_RSRC2:USER_SGPR: 2
; COMPUTE_PGM_RSRC2:TRAP_HANDLER: 0
; COMPUTE_PGM_RSRC2:TGID_X_EN: 1
; COMPUTE_PGM_RSRC2:TGID_Y_EN: 0
; COMPUTE_PGM_RSRC2:TGID_Z_EN: 1
; COMPUTE_PGM_RSRC2:TIDIG_COMP_CNT: 0
; COMPUTE_PGM_RSRC3_GFX90A:ACCUM_OFFSET: 6
; COMPUTE_PGM_RSRC3_GFX90A:TG_SPLIT: 0
	.section	.AMDGPU.gpr_maximums,"",@progbits
	.set amdgpu.max_num_vgpr, 0
	.set amdgpu.max_num_agpr, 0
	.set amdgpu.max_num_sgpr, 0
	.section	.AMDGPU.csdata,"",@progbits
	.type	__hip_cuid_5f9e922a79823d25,@object ; @__hip_cuid_5f9e922a79823d25
	.section	.bss,"aw",@nobits
	.globl	__hip_cuid_5f9e922a79823d25
__hip_cuid_5f9e922a79823d25:
	.byte	0                               ; 0x0
	.size	__hip_cuid_5f9e922a79823d25, 1

	.ident	"AMD clang version 22.0.0git (https://github.com/RadeonOpenCompute/llvm-project roc-7.2.4 26084 f58b06dce1f9c15707c5f808fd002e18c2accf7e)"
	.section	".note.GNU-stack","",@progbits
	.addrsig
	.addrsig_sym __hip_cuid_5f9e922a79823d25
	.amdgpu_metadata
---
amdhsa.kernels:
  - .agpr_count:     0
    .args:
      - .offset:         0
        .size:           4
        .value_kind:     by_value
      - .address_space:  global
        .offset:         8
        .size:           8
        .value_kind:     global_buffer
      - .offset:         16
        .size:           8
        .value_kind:     by_value
      - .offset:         24
        .size:           8
        .value_kind:     by_value
      - .address_space:  global
        .offset:         32
        .size:           8
        .value_kind:     global_buffer
      - .offset:         40
        .size:           8
        .value_kind:     by_value
      - .offset:         48
        .size:           8
        .value_kind:     by_value
      - .address_space:  global
        .offset:         56
        .size:           8
        .value_kind:     global_buffer
      - .offset:         64
        .size:           8
        .value_kind:     by_value
      - .offset:         72
        .size:           4
        .value_kind:     by_value
      - .offset:         80
        .size:           8
        .value_kind:     by_value
      - .address_space:  global
        .offset:         88
        .size:           8
        .value_kind:     global_buffer
      - .offset:         96
        .size:           8
        .value_kind:     by_value
    .group_segment_fixed_size: 8
    .kernarg_segment_align: 8
    .kernarg_segment_size: 104
    .language:       OpenCL C
    .language_version:
      - 2
      - 0
    .max_flat_workgroup_size: 64
    .name:           _ZN9rocsolver6v33100L18larfg_kernel_smallILi64E19rocblas_complex_numIfEifPS3_EEvT1_T3_llPT2_llS6_lS5_lPT0_l
    .private_segment_fixed_size: 0
    .sgpr_count:     32
    .sgpr_spill_count: 0
    .symbol:         _ZN9rocsolver6v33100L18larfg_kernel_smallILi64E19rocblas_complex_numIfEifPS3_EEvT1_T3_llPT2_llS6_lS5_lPT0_l.kd
    .uniform_work_group_size: 1
    .uses_dynamic_stack: false
    .vgpr_count:     26
    .vgpr_spill_count: 0
    .wavefront_size: 64
  - .agpr_count:     0
    .args:
      - .offset:         0
        .size:           4
        .value_kind:     by_value
      - .address_space:  global
        .offset:         8
        .size:           8
        .value_kind:     global_buffer
      - .offset:         16
        .size:           8
        .value_kind:     by_value
      - .offset:         24
        .size:           8
        .value_kind:     by_value
      - .address_space:  global
        .offset:         32
        .size:           8
        .value_kind:     global_buffer
      - .offset:         40
        .size:           8
        .value_kind:     by_value
      - .offset:         48
        .size:           8
        .value_kind:     by_value
      - .address_space:  global
        .offset:         56
        .size:           8
        .value_kind:     global_buffer
      - .offset:         64
        .size:           8
        .value_kind:     by_value
      - .offset:         72
        .size:           4
        .value_kind:     by_value
      - .offset:         80
        .size:           8
        .value_kind:     by_value
      - .address_space:  global
        .offset:         88
        .size:           8
        .value_kind:     global_buffer
      - .offset:         96
        .size:           8
        .value_kind:     by_value
    .group_segment_fixed_size: 16
    .kernarg_segment_align: 8
    .kernarg_segment_size: 104
    .language:       OpenCL C
    .language_version:
      - 2
      - 0
    .max_flat_workgroup_size: 128
    .name:           _ZN9rocsolver6v33100L18larfg_kernel_smallILi128E19rocblas_complex_numIfEifPS3_EEvT1_T3_llPT2_llS6_lS5_lPT0_l
    .private_segment_fixed_size: 0
    .sgpr_count:     32
    .sgpr_spill_count: 0
    .symbol:         _ZN9rocsolver6v33100L18larfg_kernel_smallILi128E19rocblas_complex_numIfEifPS3_EEvT1_T3_llPT2_llS6_lS5_lPT0_l.kd
    .uniform_work_group_size: 1
    .uses_dynamic_stack: false
    .vgpr_count:     26
    .vgpr_spill_count: 0
    .wavefront_size: 64
  - .agpr_count:     0
    .args:
      - .offset:         0
        .size:           4
        .value_kind:     by_value
      - .address_space:  global
        .offset:         8
        .size:           8
        .value_kind:     global_buffer
      - .offset:         16
        .size:           8
        .value_kind:     by_value
      - .offset:         24
        .size:           8
        .value_kind:     by_value
      - .address_space:  global
        .offset:         32
        .size:           8
        .value_kind:     global_buffer
      - .offset:         40
        .size:           8
        .value_kind:     by_value
      - .offset:         48
        .size:           8
        .value_kind:     by_value
      - .address_space:  global
        .offset:         56
        .size:           8
        .value_kind:     global_buffer
      - .offset:         64
        .size:           8
        .value_kind:     by_value
      - .offset:         72
        .size:           4
        .value_kind:     by_value
      - .offset:         80
        .size:           8
        .value_kind:     by_value
      - .address_space:  global
        .offset:         88
        .size:           8
        .value_kind:     global_buffer
      - .offset:         96
        .size:           8
        .value_kind:     by_value
    .group_segment_fixed_size: 32
    .kernarg_segment_align: 8
    .kernarg_segment_size: 104
    .language:       OpenCL C
    .language_version:
      - 2
      - 0
    .max_flat_workgroup_size: 256
    .name:           _ZN9rocsolver6v33100L18larfg_kernel_smallILi256E19rocblas_complex_numIfEifPS3_EEvT1_T3_llPT2_llS6_lS5_lPT0_l
    .private_segment_fixed_size: 0
    .sgpr_count:     32
    .sgpr_spill_count: 0
    .symbol:         _ZN9rocsolver6v33100L18larfg_kernel_smallILi256E19rocblas_complex_numIfEifPS3_EEvT1_T3_llPT2_llS6_lS5_lPT0_l.kd
    .uniform_work_group_size: 1
    .uses_dynamic_stack: false
    .vgpr_count:     26
    .vgpr_spill_count: 0
    .wavefront_size: 64
  - .agpr_count:     0
    .args:
      - .offset:         0
        .size:           4
        .value_kind:     by_value
      - .address_space:  global
        .offset:         8
        .size:           8
        .value_kind:     global_buffer
      - .offset:         16
        .size:           8
        .value_kind:     by_value
      - .offset:         24
        .size:           8
        .value_kind:     by_value
      - .address_space:  global
        .offset:         32
        .size:           8
        .value_kind:     global_buffer
      - .offset:         40
        .size:           8
        .value_kind:     by_value
      - .offset:         48
        .size:           8
        .value_kind:     by_value
      - .address_space:  global
        .offset:         56
        .size:           8
        .value_kind:     global_buffer
      - .offset:         64
        .size:           8
        .value_kind:     by_value
      - .offset:         72
        .size:           4
        .value_kind:     by_value
      - .offset:         80
        .size:           8
        .value_kind:     by_value
      - .address_space:  global
        .offset:         88
        .size:           8
        .value_kind:     global_buffer
      - .offset:         96
        .size:           8
        .value_kind:     by_value
    .group_segment_fixed_size: 64
    .kernarg_segment_align: 8
    .kernarg_segment_size: 104
    .language:       OpenCL C
    .language_version:
      - 2
      - 0
    .max_flat_workgroup_size: 512
    .name:           _ZN9rocsolver6v33100L18larfg_kernel_smallILi512E19rocblas_complex_numIfEifPS3_EEvT1_T3_llPT2_llS6_lS5_lPT0_l
    .private_segment_fixed_size: 0
    .sgpr_count:     32
    .sgpr_spill_count: 0
    .symbol:         _ZN9rocsolver6v33100L18larfg_kernel_smallILi512E19rocblas_complex_numIfEifPS3_EEvT1_T3_llPT2_llS6_lS5_lPT0_l.kd
    .uniform_work_group_size: 1
    .uses_dynamic_stack: false
    .vgpr_count:     26
    .vgpr_spill_count: 0
    .wavefront_size: 64
  - .agpr_count:     0
    .args:
      - .offset:         0
        .size:           4
        .value_kind:     by_value
      - .address_space:  global
        .offset:         8
        .size:           8
        .value_kind:     global_buffer
      - .offset:         16
        .size:           8
        .value_kind:     by_value
      - .offset:         24
        .size:           8
        .value_kind:     by_value
      - .address_space:  global
        .offset:         32
        .size:           8
        .value_kind:     global_buffer
      - .offset:         40
        .size:           8
        .value_kind:     by_value
      - .offset:         48
        .size:           8
        .value_kind:     by_value
      - .address_space:  global
        .offset:         56
        .size:           8
        .value_kind:     global_buffer
      - .offset:         64
        .size:           8
        .value_kind:     by_value
      - .offset:         72
        .size:           4
        .value_kind:     by_value
      - .offset:         80
        .size:           8
        .value_kind:     by_value
      - .address_space:  global
        .offset:         88
        .size:           8
        .value_kind:     global_buffer
      - .offset:         96
        .size:           8
        .value_kind:     by_value
    .group_segment_fixed_size: 128
    .kernarg_segment_align: 8
    .kernarg_segment_size: 104
    .language:       OpenCL C
    .language_version:
      - 2
      - 0
    .max_flat_workgroup_size: 1024
    .name:           _ZN9rocsolver6v33100L18larfg_kernel_smallILi1024E19rocblas_complex_numIfEifPS3_EEvT1_T3_llPT2_llS6_lS5_lPT0_l
    .private_segment_fixed_size: 0
    .sgpr_count:     32
    .sgpr_spill_count: 0
    .symbol:         _ZN9rocsolver6v33100L18larfg_kernel_smallILi1024E19rocblas_complex_numIfEifPS3_EEvT1_T3_llPT2_llS6_lS5_lPT0_l.kd
    .uniform_work_group_size: 1
    .uses_dynamic_stack: false
    .vgpr_count:     26
    .vgpr_spill_count: 0
    .wavefront_size: 64
  - .agpr_count:     0
    .args:
      - .offset:         0
        .size:           4
        .value_kind:     by_value
      - .address_space:  global
        .offset:         8
        .size:           8
        .value_kind:     global_buffer
      - .offset:         16
        .size:           8
        .value_kind:     by_value
      - .offset:         24
        .size:           8
        .value_kind:     by_value
      - .address_space:  global
        .offset:         32
        .size:           8
        .value_kind:     global_buffer
      - .offset:         40
        .size:           8
        .value_kind:     by_value
      - .offset:         48
        .size:           8
        .value_kind:     by_value
      - .address_space:  global
        .offset:         56
        .size:           8
        .value_kind:     global_buffer
      - .offset:         64
        .size:           8
        .value_kind:     by_value
      - .offset:         72
        .size:           4
        .value_kind:     by_value
      - .offset:         80
        .size:           8
        .value_kind:     by_value
      - .address_space:  global
        .offset:         88
        .size:           8
        .value_kind:     global_buffer
      - .offset:         96
        .size:           8
        .value_kind:     by_value
    .group_segment_fixed_size: 8
    .kernarg_segment_align: 8
    .kernarg_segment_size: 104
    .language:       OpenCL C
    .language_version:
      - 2
      - 0
    .max_flat_workgroup_size: 64
    .name:           _ZN9rocsolver6v33100L18larfg_kernel_smallILi64E19rocblas_complex_numIfEifPKPS3_EEvT1_T3_llPT2_llS8_lS7_lPT0_l
    .private_segment_fixed_size: 0
    .sgpr_count:     32
    .sgpr_spill_count: 0
    .symbol:         _ZN9rocsolver6v33100L18larfg_kernel_smallILi64E19rocblas_complex_numIfEifPKPS3_EEvT1_T3_llPT2_llS8_lS7_lPT0_l.kd
    .uniform_work_group_size: 1
    .uses_dynamic_stack: false
    .vgpr_count:     27
    .vgpr_spill_count: 0
    .wavefront_size: 64
  - .agpr_count:     0
    .args:
      - .offset:         0
        .size:           4
        .value_kind:     by_value
      - .address_space:  global
        .offset:         8
        .size:           8
        .value_kind:     global_buffer
      - .offset:         16
        .size:           8
        .value_kind:     by_value
      - .offset:         24
        .size:           8
        .value_kind:     by_value
      - .address_space:  global
        .offset:         32
        .size:           8
        .value_kind:     global_buffer
      - .offset:         40
        .size:           8
        .value_kind:     by_value
      - .offset:         48
        .size:           8
        .value_kind:     by_value
      - .address_space:  global
        .offset:         56
        .size:           8
        .value_kind:     global_buffer
      - .offset:         64
        .size:           8
        .value_kind:     by_value
      - .offset:         72
        .size:           4
        .value_kind:     by_value
      - .offset:         80
        .size:           8
        .value_kind:     by_value
      - .address_space:  global
        .offset:         88
        .size:           8
        .value_kind:     global_buffer
      - .offset:         96
        .size:           8
        .value_kind:     by_value
    .group_segment_fixed_size: 16
    .kernarg_segment_align: 8
    .kernarg_segment_size: 104
    .language:       OpenCL C
    .language_version:
      - 2
      - 0
    .max_flat_workgroup_size: 128
    .name:           _ZN9rocsolver6v33100L18larfg_kernel_smallILi128E19rocblas_complex_numIfEifPKPS3_EEvT1_T3_llPT2_llS8_lS7_lPT0_l
    .private_segment_fixed_size: 0
    .sgpr_count:     32
    .sgpr_spill_count: 0
    .symbol:         _ZN9rocsolver6v33100L18larfg_kernel_smallILi128E19rocblas_complex_numIfEifPKPS3_EEvT1_T3_llPT2_llS8_lS7_lPT0_l.kd
    .uniform_work_group_size: 1
    .uses_dynamic_stack: false
    .vgpr_count:     27
    .vgpr_spill_count: 0
    .wavefront_size: 64
  - .agpr_count:     0
    .args:
      - .offset:         0
        .size:           4
        .value_kind:     by_value
      - .address_space:  global
        .offset:         8
        .size:           8
        .value_kind:     global_buffer
      - .offset:         16
        .size:           8
        .value_kind:     by_value
      - .offset:         24
        .size:           8
        .value_kind:     by_value
      - .address_space:  global
        .offset:         32
        .size:           8
        .value_kind:     global_buffer
      - .offset:         40
        .size:           8
        .value_kind:     by_value
      - .offset:         48
        .size:           8
        .value_kind:     by_value
      - .address_space:  global
        .offset:         56
        .size:           8
        .value_kind:     global_buffer
      - .offset:         64
        .size:           8
        .value_kind:     by_value
      - .offset:         72
        .size:           4
        .value_kind:     by_value
      - .offset:         80
        .size:           8
        .value_kind:     by_value
      - .address_space:  global
        .offset:         88
        .size:           8
        .value_kind:     global_buffer
      - .offset:         96
        .size:           8
        .value_kind:     by_value
    .group_segment_fixed_size: 32
    .kernarg_segment_align: 8
    .kernarg_segment_size: 104
    .language:       OpenCL C
    .language_version:
      - 2
      - 0
    .max_flat_workgroup_size: 256
    .name:           _ZN9rocsolver6v33100L18larfg_kernel_smallILi256E19rocblas_complex_numIfEifPKPS3_EEvT1_T3_llPT2_llS8_lS7_lPT0_l
    .private_segment_fixed_size: 0
    .sgpr_count:     32
    .sgpr_spill_count: 0
    .symbol:         _ZN9rocsolver6v33100L18larfg_kernel_smallILi256E19rocblas_complex_numIfEifPKPS3_EEvT1_T3_llPT2_llS8_lS7_lPT0_l.kd
    .uniform_work_group_size: 1
    .uses_dynamic_stack: false
    .vgpr_count:     27
    .vgpr_spill_count: 0
    .wavefront_size: 64
  - .agpr_count:     0
    .args:
      - .offset:         0
        .size:           4
        .value_kind:     by_value
      - .address_space:  global
        .offset:         8
        .size:           8
        .value_kind:     global_buffer
      - .offset:         16
        .size:           8
        .value_kind:     by_value
      - .offset:         24
        .size:           8
        .value_kind:     by_value
      - .address_space:  global
        .offset:         32
        .size:           8
        .value_kind:     global_buffer
      - .offset:         40
        .size:           8
        .value_kind:     by_value
      - .offset:         48
        .size:           8
        .value_kind:     by_value
      - .address_space:  global
        .offset:         56
        .size:           8
        .value_kind:     global_buffer
      - .offset:         64
        .size:           8
        .value_kind:     by_value
      - .offset:         72
        .size:           4
        .value_kind:     by_value
      - .offset:         80
        .size:           8
        .value_kind:     by_value
      - .address_space:  global
        .offset:         88
        .size:           8
        .value_kind:     global_buffer
      - .offset:         96
        .size:           8
        .value_kind:     by_value
    .group_segment_fixed_size: 64
    .kernarg_segment_align: 8
    .kernarg_segment_size: 104
    .language:       OpenCL C
    .language_version:
      - 2
      - 0
    .max_flat_workgroup_size: 512
    .name:           _ZN9rocsolver6v33100L18larfg_kernel_smallILi512E19rocblas_complex_numIfEifPKPS3_EEvT1_T3_llPT2_llS8_lS7_lPT0_l
    .private_segment_fixed_size: 0
    .sgpr_count:     32
    .sgpr_spill_count: 0
    .symbol:         _ZN9rocsolver6v33100L18larfg_kernel_smallILi512E19rocblas_complex_numIfEifPKPS3_EEvT1_T3_llPT2_llS8_lS7_lPT0_l.kd
    .uniform_work_group_size: 1
    .uses_dynamic_stack: false
    .vgpr_count:     27
    .vgpr_spill_count: 0
    .wavefront_size: 64
  - .agpr_count:     0
    .args:
      - .offset:         0
        .size:           4
        .value_kind:     by_value
      - .address_space:  global
        .offset:         8
        .size:           8
        .value_kind:     global_buffer
      - .offset:         16
        .size:           8
        .value_kind:     by_value
      - .offset:         24
        .size:           8
        .value_kind:     by_value
      - .address_space:  global
        .offset:         32
        .size:           8
        .value_kind:     global_buffer
      - .offset:         40
        .size:           8
        .value_kind:     by_value
      - .offset:         48
        .size:           8
        .value_kind:     by_value
      - .address_space:  global
        .offset:         56
        .size:           8
        .value_kind:     global_buffer
      - .offset:         64
        .size:           8
        .value_kind:     by_value
      - .offset:         72
        .size:           4
        .value_kind:     by_value
      - .offset:         80
        .size:           8
        .value_kind:     by_value
      - .address_space:  global
        .offset:         88
        .size:           8
        .value_kind:     global_buffer
      - .offset:         96
        .size:           8
        .value_kind:     by_value
    .group_segment_fixed_size: 128
    .kernarg_segment_align: 8
    .kernarg_segment_size: 104
    .language:       OpenCL C
    .language_version:
      - 2
      - 0
    .max_flat_workgroup_size: 1024
    .name:           _ZN9rocsolver6v33100L18larfg_kernel_smallILi1024E19rocblas_complex_numIfEifPKPS3_EEvT1_T3_llPT2_llS8_lS7_lPT0_l
    .private_segment_fixed_size: 0
    .sgpr_count:     32
    .sgpr_spill_count: 0
    .symbol:         _ZN9rocsolver6v33100L18larfg_kernel_smallILi1024E19rocblas_complex_numIfEifPKPS3_EEvT1_T3_llPT2_llS8_lS7_lPT0_l.kd
    .uniform_work_group_size: 1
    .uses_dynamic_stack: false
    .vgpr_count:     27
    .vgpr_spill_count: 0
    .wavefront_size: 64
  - .agpr_count:     0
    .args:
      - .offset:         0
        .size:           8
        .value_kind:     by_value
      - .address_space:  global
        .offset:         8
        .size:           8
        .value_kind:     global_buffer
      - .offset:         16
        .size:           8
        .value_kind:     by_value
      - .offset:         24
        .size:           8
        .value_kind:     by_value
      - .address_space:  global
        .offset:         32
        .size:           8
        .value_kind:     global_buffer
      - .offset:         40
        .size:           8
        .value_kind:     by_value
      - .offset:         48
        .size:           8
        .value_kind:     by_value
      - .address_space:  global
        .offset:         56
        .size:           8
        .value_kind:     global_buffer
      - .offset:         64
        .size:           8
        .value_kind:     by_value
      - .offset:         72
        .size:           8
        .value_kind:     by_value
      - .offset:         80
        .size:           8
        .value_kind:     by_value
      - .address_space:  global
        .offset:         88
        .size:           8
        .value_kind:     global_buffer
      - .offset:         96
        .size:           8
        .value_kind:     by_value
    .group_segment_fixed_size: 8
    .kernarg_segment_align: 8
    .kernarg_segment_size: 104
    .language:       OpenCL C
    .language_version:
      - 2
      - 0
    .max_flat_workgroup_size: 64
    .name:           _ZN9rocsolver6v33100L18larfg_kernel_smallILi64E19rocblas_complex_numIfElfPS3_EEvT1_T3_llPT2_llS6_lS5_lPT0_l
    .private_segment_fixed_size: 0
    .sgpr_count:     41
    .sgpr_spill_count: 0
    .symbol:         _ZN9rocsolver6v33100L18larfg_kernel_smallILi64E19rocblas_complex_numIfElfPS3_EEvT1_T3_llPT2_llS6_lS5_lPT0_l.kd
    .uniform_work_group_size: 1
    .uses_dynamic_stack: false
    .vgpr_count:     26
    .vgpr_spill_count: 0
    .wavefront_size: 64
  - .agpr_count:     0
    .args:
      - .offset:         0
        .size:           8
        .value_kind:     by_value
      - .address_space:  global
        .offset:         8
        .size:           8
        .value_kind:     global_buffer
      - .offset:         16
        .size:           8
        .value_kind:     by_value
      - .offset:         24
        .size:           8
        .value_kind:     by_value
      - .address_space:  global
        .offset:         32
        .size:           8
        .value_kind:     global_buffer
      - .offset:         40
        .size:           8
        .value_kind:     by_value
      - .offset:         48
        .size:           8
        .value_kind:     by_value
      - .address_space:  global
        .offset:         56
        .size:           8
        .value_kind:     global_buffer
      - .offset:         64
        .size:           8
        .value_kind:     by_value
      - .offset:         72
        .size:           8
        .value_kind:     by_value
      - .offset:         80
        .size:           8
        .value_kind:     by_value
      - .address_space:  global
        .offset:         88
        .size:           8
        .value_kind:     global_buffer
      - .offset:         96
        .size:           8
        .value_kind:     by_value
    .group_segment_fixed_size: 16
    .kernarg_segment_align: 8
    .kernarg_segment_size: 104
    .language:       OpenCL C
    .language_version:
      - 2
      - 0
    .max_flat_workgroup_size: 128
    .name:           _ZN9rocsolver6v33100L18larfg_kernel_smallILi128E19rocblas_complex_numIfElfPS3_EEvT1_T3_llPT2_llS6_lS5_lPT0_l
    .private_segment_fixed_size: 0
    .sgpr_count:     43
    .sgpr_spill_count: 0
    .symbol:         _ZN9rocsolver6v33100L18larfg_kernel_smallILi128E19rocblas_complex_numIfElfPS3_EEvT1_T3_llPT2_llS6_lS5_lPT0_l.kd
    .uniform_work_group_size: 1
    .uses_dynamic_stack: false
    .vgpr_count:     26
    .vgpr_spill_count: 0
    .wavefront_size: 64
  - .agpr_count:     0
    .args:
      - .offset:         0
        .size:           8
        .value_kind:     by_value
      - .address_space:  global
        .offset:         8
        .size:           8
        .value_kind:     global_buffer
      - .offset:         16
        .size:           8
        .value_kind:     by_value
      - .offset:         24
        .size:           8
        .value_kind:     by_value
      - .address_space:  global
        .offset:         32
        .size:           8
        .value_kind:     global_buffer
      - .offset:         40
        .size:           8
        .value_kind:     by_value
      - .offset:         48
        .size:           8
        .value_kind:     by_value
      - .address_space:  global
        .offset:         56
        .size:           8
        .value_kind:     global_buffer
      - .offset:         64
        .size:           8
        .value_kind:     by_value
      - .offset:         72
        .size:           8
        .value_kind:     by_value
      - .offset:         80
        .size:           8
        .value_kind:     by_value
      - .address_space:  global
        .offset:         88
        .size:           8
        .value_kind:     global_buffer
      - .offset:         96
        .size:           8
        .value_kind:     by_value
    .group_segment_fixed_size: 32
    .kernarg_segment_align: 8
    .kernarg_segment_size: 104
    .language:       OpenCL C
    .language_version:
      - 2
      - 0
    .max_flat_workgroup_size: 256
    .name:           _ZN9rocsolver6v33100L18larfg_kernel_smallILi256E19rocblas_complex_numIfElfPS3_EEvT1_T3_llPT2_llS6_lS5_lPT0_l
    .private_segment_fixed_size: 0
    .sgpr_count:     43
    .sgpr_spill_count: 0
    .symbol:         _ZN9rocsolver6v33100L18larfg_kernel_smallILi256E19rocblas_complex_numIfElfPS3_EEvT1_T3_llPT2_llS6_lS5_lPT0_l.kd
    .uniform_work_group_size: 1
    .uses_dynamic_stack: false
    .vgpr_count:     26
    .vgpr_spill_count: 0
    .wavefront_size: 64
  - .agpr_count:     0
    .args:
      - .offset:         0
        .size:           8
        .value_kind:     by_value
      - .address_space:  global
        .offset:         8
        .size:           8
        .value_kind:     global_buffer
      - .offset:         16
        .size:           8
        .value_kind:     by_value
      - .offset:         24
        .size:           8
        .value_kind:     by_value
      - .address_space:  global
        .offset:         32
        .size:           8
        .value_kind:     global_buffer
      - .offset:         40
        .size:           8
        .value_kind:     by_value
      - .offset:         48
        .size:           8
        .value_kind:     by_value
      - .address_space:  global
        .offset:         56
        .size:           8
        .value_kind:     global_buffer
      - .offset:         64
        .size:           8
        .value_kind:     by_value
      - .offset:         72
        .size:           8
        .value_kind:     by_value
      - .offset:         80
        .size:           8
        .value_kind:     by_value
      - .address_space:  global
        .offset:         88
        .size:           8
        .value_kind:     global_buffer
      - .offset:         96
        .size:           8
        .value_kind:     by_value
    .group_segment_fixed_size: 64
    .kernarg_segment_align: 8
    .kernarg_segment_size: 104
    .language:       OpenCL C
    .language_version:
      - 2
      - 0
    .max_flat_workgroup_size: 512
    .name:           _ZN9rocsolver6v33100L18larfg_kernel_smallILi512E19rocblas_complex_numIfElfPS3_EEvT1_T3_llPT2_llS6_lS5_lPT0_l
    .private_segment_fixed_size: 0
    .sgpr_count:     43
    .sgpr_spill_count: 0
    .symbol:         _ZN9rocsolver6v33100L18larfg_kernel_smallILi512E19rocblas_complex_numIfElfPS3_EEvT1_T3_llPT2_llS6_lS5_lPT0_l.kd
    .uniform_work_group_size: 1
    .uses_dynamic_stack: false
    .vgpr_count:     26
    .vgpr_spill_count: 0
    .wavefront_size: 64
  - .agpr_count:     0
    .args:
      - .offset:         0
        .size:           8
        .value_kind:     by_value
      - .address_space:  global
        .offset:         8
        .size:           8
        .value_kind:     global_buffer
      - .offset:         16
        .size:           8
        .value_kind:     by_value
      - .offset:         24
        .size:           8
        .value_kind:     by_value
      - .address_space:  global
        .offset:         32
        .size:           8
        .value_kind:     global_buffer
      - .offset:         40
        .size:           8
        .value_kind:     by_value
      - .offset:         48
        .size:           8
        .value_kind:     by_value
      - .address_space:  global
        .offset:         56
        .size:           8
        .value_kind:     global_buffer
      - .offset:         64
        .size:           8
        .value_kind:     by_value
      - .offset:         72
        .size:           8
        .value_kind:     by_value
      - .offset:         80
        .size:           8
        .value_kind:     by_value
      - .address_space:  global
        .offset:         88
        .size:           8
        .value_kind:     global_buffer
      - .offset:         96
        .size:           8
        .value_kind:     by_value
    .group_segment_fixed_size: 128
    .kernarg_segment_align: 8
    .kernarg_segment_size: 104
    .language:       OpenCL C
    .language_version:
      - 2
      - 0
    .max_flat_workgroup_size: 1024
    .name:           _ZN9rocsolver6v33100L18larfg_kernel_smallILi1024E19rocblas_complex_numIfElfPS3_EEvT1_T3_llPT2_llS6_lS5_lPT0_l
    .private_segment_fixed_size: 0
    .sgpr_count:     43
    .sgpr_spill_count: 0
    .symbol:         _ZN9rocsolver6v33100L18larfg_kernel_smallILi1024E19rocblas_complex_numIfElfPS3_EEvT1_T3_llPT2_llS6_lS5_lPT0_l.kd
    .uniform_work_group_size: 1
    .uses_dynamic_stack: false
    .vgpr_count:     26
    .vgpr_spill_count: 0
    .wavefront_size: 64
  - .agpr_count:     0
    .args:
      - .offset:         0
        .size:           8
        .value_kind:     by_value
      - .address_space:  global
        .offset:         8
        .size:           8
        .value_kind:     global_buffer
      - .offset:         16
        .size:           8
        .value_kind:     by_value
      - .offset:         24
        .size:           8
        .value_kind:     by_value
      - .address_space:  global
        .offset:         32
        .size:           8
        .value_kind:     global_buffer
      - .offset:         40
        .size:           8
        .value_kind:     by_value
      - .offset:         48
        .size:           8
        .value_kind:     by_value
      - .address_space:  global
        .offset:         56
        .size:           8
        .value_kind:     global_buffer
      - .offset:         64
        .size:           8
        .value_kind:     by_value
      - .offset:         72
        .size:           8
        .value_kind:     by_value
      - .offset:         80
        .size:           8
        .value_kind:     by_value
      - .address_space:  global
        .offset:         88
        .size:           8
        .value_kind:     global_buffer
      - .offset:         96
        .size:           8
        .value_kind:     by_value
    .group_segment_fixed_size: 8
    .kernarg_segment_align: 8
    .kernarg_segment_size: 104
    .language:       OpenCL C
    .language_version:
      - 2
      - 0
    .max_flat_workgroup_size: 64
    .name:           _ZN9rocsolver6v33100L18larfg_kernel_smallILi64E19rocblas_complex_numIfElfPKPS3_EEvT1_T3_llPT2_llS8_lS7_lPT0_l
    .private_segment_fixed_size: 0
    .sgpr_count:     36
    .sgpr_spill_count: 0
    .symbol:         _ZN9rocsolver6v33100L18larfg_kernel_smallILi64E19rocblas_complex_numIfElfPKPS3_EEvT1_T3_llPT2_llS8_lS7_lPT0_l.kd
    .uniform_work_group_size: 1
    .uses_dynamic_stack: false
    .vgpr_count:     27
    .vgpr_spill_count: 0
    .wavefront_size: 64
  - .agpr_count:     0
    .args:
      - .offset:         0
        .size:           8
        .value_kind:     by_value
      - .address_space:  global
        .offset:         8
        .size:           8
        .value_kind:     global_buffer
      - .offset:         16
        .size:           8
        .value_kind:     by_value
      - .offset:         24
        .size:           8
        .value_kind:     by_value
      - .address_space:  global
        .offset:         32
        .size:           8
        .value_kind:     global_buffer
      - .offset:         40
        .size:           8
        .value_kind:     by_value
      - .offset:         48
        .size:           8
        .value_kind:     by_value
      - .address_space:  global
        .offset:         56
        .size:           8
        .value_kind:     global_buffer
      - .offset:         64
        .size:           8
        .value_kind:     by_value
      - .offset:         72
        .size:           8
        .value_kind:     by_value
      - .offset:         80
        .size:           8
        .value_kind:     by_value
      - .address_space:  global
        .offset:         88
        .size:           8
        .value_kind:     global_buffer
      - .offset:         96
        .size:           8
        .value_kind:     by_value
    .group_segment_fixed_size: 16
    .kernarg_segment_align: 8
    .kernarg_segment_size: 104
    .language:       OpenCL C
    .language_version:
      - 2
      - 0
    .max_flat_workgroup_size: 128
    .name:           _ZN9rocsolver6v33100L18larfg_kernel_smallILi128E19rocblas_complex_numIfElfPKPS3_EEvT1_T3_llPT2_llS8_lS7_lPT0_l
    .private_segment_fixed_size: 0
    .sgpr_count:     36
    .sgpr_spill_count: 0
    .symbol:         _ZN9rocsolver6v33100L18larfg_kernel_smallILi128E19rocblas_complex_numIfElfPKPS3_EEvT1_T3_llPT2_llS8_lS7_lPT0_l.kd
    .uniform_work_group_size: 1
    .uses_dynamic_stack: false
    .vgpr_count:     27
    .vgpr_spill_count: 0
    .wavefront_size: 64
  - .agpr_count:     0
    .args:
      - .offset:         0
        .size:           8
        .value_kind:     by_value
      - .address_space:  global
        .offset:         8
        .size:           8
        .value_kind:     global_buffer
      - .offset:         16
        .size:           8
        .value_kind:     by_value
      - .offset:         24
        .size:           8
        .value_kind:     by_value
      - .address_space:  global
        .offset:         32
        .size:           8
        .value_kind:     global_buffer
      - .offset:         40
        .size:           8
        .value_kind:     by_value
      - .offset:         48
        .size:           8
        .value_kind:     by_value
      - .address_space:  global
        .offset:         56
        .size:           8
        .value_kind:     global_buffer
      - .offset:         64
        .size:           8
        .value_kind:     by_value
      - .offset:         72
        .size:           8
        .value_kind:     by_value
      - .offset:         80
        .size:           8
        .value_kind:     by_value
      - .address_space:  global
        .offset:         88
        .size:           8
        .value_kind:     global_buffer
      - .offset:         96
        .size:           8
        .value_kind:     by_value
    .group_segment_fixed_size: 32
    .kernarg_segment_align: 8
    .kernarg_segment_size: 104
    .language:       OpenCL C
    .language_version:
      - 2
      - 0
    .max_flat_workgroup_size: 256
    .name:           _ZN9rocsolver6v33100L18larfg_kernel_smallILi256E19rocblas_complex_numIfElfPKPS3_EEvT1_T3_llPT2_llS8_lS7_lPT0_l
    .private_segment_fixed_size: 0
    .sgpr_count:     36
    .sgpr_spill_count: 0
    .symbol:         _ZN9rocsolver6v33100L18larfg_kernel_smallILi256E19rocblas_complex_numIfElfPKPS3_EEvT1_T3_llPT2_llS8_lS7_lPT0_l.kd
    .uniform_work_group_size: 1
    .uses_dynamic_stack: false
    .vgpr_count:     27
    .vgpr_spill_count: 0
    .wavefront_size: 64
  - .agpr_count:     0
    .args:
      - .offset:         0
        .size:           8
        .value_kind:     by_value
      - .address_space:  global
        .offset:         8
        .size:           8
        .value_kind:     global_buffer
      - .offset:         16
        .size:           8
        .value_kind:     by_value
      - .offset:         24
        .size:           8
        .value_kind:     by_value
      - .address_space:  global
        .offset:         32
        .size:           8
        .value_kind:     global_buffer
      - .offset:         40
        .size:           8
        .value_kind:     by_value
      - .offset:         48
        .size:           8
        .value_kind:     by_value
      - .address_space:  global
        .offset:         56
        .size:           8
        .value_kind:     global_buffer
      - .offset:         64
        .size:           8
        .value_kind:     by_value
      - .offset:         72
        .size:           8
        .value_kind:     by_value
      - .offset:         80
        .size:           8
        .value_kind:     by_value
      - .address_space:  global
        .offset:         88
        .size:           8
        .value_kind:     global_buffer
      - .offset:         96
        .size:           8
        .value_kind:     by_value
    .group_segment_fixed_size: 64
    .kernarg_segment_align: 8
    .kernarg_segment_size: 104
    .language:       OpenCL C
    .language_version:
      - 2
      - 0
    .max_flat_workgroup_size: 512
    .name:           _ZN9rocsolver6v33100L18larfg_kernel_smallILi512E19rocblas_complex_numIfElfPKPS3_EEvT1_T3_llPT2_llS8_lS7_lPT0_l
    .private_segment_fixed_size: 0
    .sgpr_count:     36
    .sgpr_spill_count: 0
    .symbol:         _ZN9rocsolver6v33100L18larfg_kernel_smallILi512E19rocblas_complex_numIfElfPKPS3_EEvT1_T3_llPT2_llS8_lS7_lPT0_l.kd
    .uniform_work_group_size: 1
    .uses_dynamic_stack: false
    .vgpr_count:     27
    .vgpr_spill_count: 0
    .wavefront_size: 64
  - .agpr_count:     0
    .args:
      - .offset:         0
        .size:           8
        .value_kind:     by_value
      - .address_space:  global
        .offset:         8
        .size:           8
        .value_kind:     global_buffer
      - .offset:         16
        .size:           8
        .value_kind:     by_value
      - .offset:         24
        .size:           8
        .value_kind:     by_value
      - .address_space:  global
        .offset:         32
        .size:           8
        .value_kind:     global_buffer
      - .offset:         40
        .size:           8
        .value_kind:     by_value
      - .offset:         48
        .size:           8
        .value_kind:     by_value
      - .address_space:  global
        .offset:         56
        .size:           8
        .value_kind:     global_buffer
      - .offset:         64
        .size:           8
        .value_kind:     by_value
      - .offset:         72
        .size:           8
        .value_kind:     by_value
      - .offset:         80
        .size:           8
        .value_kind:     by_value
      - .address_space:  global
        .offset:         88
        .size:           8
        .value_kind:     global_buffer
      - .offset:         96
        .size:           8
        .value_kind:     by_value
    .group_segment_fixed_size: 128
    .kernarg_segment_align: 8
    .kernarg_segment_size: 104
    .language:       OpenCL C
    .language_version:
      - 2
      - 0
    .max_flat_workgroup_size: 1024
    .name:           _ZN9rocsolver6v33100L18larfg_kernel_smallILi1024E19rocblas_complex_numIfElfPKPS3_EEvT1_T3_llPT2_llS8_lS7_lPT0_l
    .private_segment_fixed_size: 0
    .sgpr_count:     36
    .sgpr_spill_count: 0
    .symbol:         _ZN9rocsolver6v33100L18larfg_kernel_smallILi1024E19rocblas_complex_numIfElfPKPS3_EEvT1_T3_llPT2_llS8_lS7_lPT0_l.kd
    .uniform_work_group_size: 1
    .uses_dynamic_stack: false
    .vgpr_count:     27
    .vgpr_spill_count: 0
    .wavefront_size: 64
amdhsa.target:   amdgcn-amd-amdhsa--gfx950
amdhsa.version:
  - 1
  - 2
...

	.end_amdgpu_metadata
